;; amdgpu-corpus repo=ROCm/rocFFT kind=compiled arch=gfx906 opt=O3
	.text
	.amdgcn_target "amdgcn-amd-amdhsa--gfx906"
	.amdhsa_code_object_version 6
	.protected	bluestein_single_back_len4000_dim1_sp_op_CI_CI ; -- Begin function bluestein_single_back_len4000_dim1_sp_op_CI_CI
	.globl	bluestein_single_back_len4000_dim1_sp_op_CI_CI
	.p2align	8
	.type	bluestein_single_back_len4000_dim1_sp_op_CI_CI,@function
bluestein_single_back_len4000_dim1_sp_op_CI_CI: ; @bluestein_single_back_len4000_dim1_sp_op_CI_CI
; %bb.0:
	s_load_dwordx4 s[16:19], s[4:5], 0x28
	v_mul_u32_u24_e32 v1, 0x148, v0
	v_add_u32_sdwa v140, s6, v1 dst_sel:DWORD dst_unused:UNUSED_PAD src0_sel:DWORD src1_sel:WORD_1
	v_mov_b32_e32 v141, 0
	s_waitcnt lgkmcnt(0)
	v_cmp_gt_u64_e32 vcc, s[16:17], v[140:141]
	s_and_saveexec_b64 s[0:1], vcc
	s_cbranch_execz .LBB0_2
; %bb.1:
	s_load_dwordx4 s[0:3], s[4:5], 0x18
	s_load_dwordx4 s[8:11], s[4:5], 0x0
	s_movk_i32 s16, 0xc8
	v_mul_lo_u16_sdwa v1, v1, s16 dst_sel:DWORD dst_unused:UNUSED_PAD src0_sel:WORD_1 src1_sel:DWORD
	v_sub_u16_e32 v183, v0, v1
	s_waitcnt lgkmcnt(0)
	s_load_dwordx4 s[12:15], s[0:1], 0x0
	v_lshlrev_b32_e32 v185, 3, v183
	global_load_dwordx2 v[151:152], v185, s[8:9]
	global_load_dwordx2 v[149:150], v185, s[8:9] offset:3200
	s_movk_i32 s6, 0x1000
	s_waitcnt lgkmcnt(0)
	v_mad_u64_u32 v[0:1], s[0:1], s14, v140, 0
	v_mad_u64_u32 v[2:3], s[0:1], s12, v183, 0
	s_mul_i32 s17, s12, 0xc80
	s_movk_i32 s7, 0x3000
	v_mad_u64_u32 v[4:5], s[0:1], s15, v140, v[1:2]
	s_mul_hi_u32 s15, s12, 0xc80
	s_movk_i32 s14, 0x4000
	v_mad_u64_u32 v[5:6], s[0:1], s13, v183, v[3:4]
	v_mov_b32_e32 v1, v4
	v_lshlrev_b64 v[0:1], 3, v[0:1]
	v_mov_b32_e32 v6, s19
	v_mov_b32_e32 v3, v5
	v_add_co_u32_e32 v4, vcc, s18, v0
	v_addc_co_u32_e32 v5, vcc, v6, v1, vcc
	v_lshlrev_b64 v[0:1], 3, v[2:3]
	s_mul_i32 s0, s13, 0xc80
	v_add_co_u32_e32 v0, vcc, v4, v0
	v_addc_co_u32_e32 v1, vcc, v5, v1, vcc
	v_mov_b32_e32 v4, s9
	v_add_co_u32_e32 v86, vcc, s8, v185
	v_addc_co_u32_e32 v87, vcc, 0, v4, vcc
	s_add_i32 s15, s15, s0
	global_load_dwordx2 v[2:3], v[0:1], off
	v_mov_b32_e32 v4, s15
	v_add_co_u32_e32 v0, vcc, s17, v0
	v_addc_co_u32_e32 v1, vcc, v1, v4, vcc
	v_mov_b32_e32 v5, s15
	v_add_co_u32_e32 v4, vcc, s17, v0
	v_addc_co_u32_e32 v5, vcc, v1, v5, vcc
	global_load_dwordx2 v[6:7], v[0:1], off
	global_load_dwordx2 v[8:9], v[4:5], off
	v_add_co_u32_e32 v0, vcc, s6, v86
	v_addc_co_u32_e32 v1, vcc, 0, v87, vcc
	global_load_dwordx2 v[147:148], v[0:1], off offset:2304
	v_mov_b32_e32 v10, s15
	v_add_co_u32_e32 v4, vcc, s17, v4
	v_addc_co_u32_e32 v5, vcc, v5, v10, vcc
	s_movk_i32 s0, 0x2000
	v_add_co_u32_e32 v10, vcc, s0, v86
	v_addc_co_u32_e32 v11, vcc, 0, v87, vcc
	v_add_co_u32_e32 v14, vcc, s7, v86
	v_addc_co_u32_e32 v15, vcc, 0, v87, vcc
	global_load_dwordx2 v[145:146], v[10:11], off offset:1408
	global_load_dwordx2 v[12:13], v[4:5], off
	s_load_dwordx4 s[0:3], s[2:3], 0x0
	global_load_dwordx2 v[128:129], v185, s[8:9] offset:1600
	global_load_dwordx2 v[157:158], v[14:15], off offset:512
	global_load_dwordx2 v[126:127], v[0:1], off offset:3904
	;; [unrolled: 1-line block ×4, first 2 shown]
	v_mov_b32_e32 v1, s15
	v_add_co_u32_e32 v0, vcc, s17, v4
	v_addc_co_u32_e32 v1, vcc, v5, v1, vcc
	v_mov_b32_e32 v10, s15
	global_load_dwordx2 v[4:5], v[0:1], off
	v_add_co_u32_e32 v0, vcc, s17, v0
	v_addc_co_u32_e32 v1, vcc, v1, v10, vcc
	global_load_dwordx2 v[10:11], v[0:1], off
	v_add_co_u32_e32 v0, vcc, s17, v0
	s_movk_i32 s9, 0x5000
	s_movk_i32 s8, 0x6000
	global_load_dwordx2 v[163:164], v[14:15], off offset:3712
	s_movk_i32 s18, 0x7000
	v_mov_b32_e32 v184, 0xffff95c0
	s_mulk_i32 s13, 0x95c0
	v_add_u32_e32 v192, 0x1800, v185
	v_add_u32_e32 v190, 0x3200, v185
	;; [unrolled: 1-line block ×9, first 2 shown]
	s_load_dwordx2 s[4:5], s[4:5], 0x38
	s_waitcnt vmcnt(13)
	v_mul_f32_e32 v16, v3, v152
	v_mul_f32_e32 v17, v2, v152
	v_fmac_f32_e32 v16, v2, v151
	v_fma_f32 v17, v3, v151, -v17
	s_waitcnt vmcnt(12)
	v_mul_f32_e32 v2, v7, v150
	v_mul_f32_e32 v3, v6, v150
	v_fmac_f32_e32 v2, v6, v149
	v_fma_f32 v3, v7, v149, -v3
	ds_write_b64 v185, v[2:3] offset:3200
	v_mov_b32_e32 v3, s15
	s_waitcnt vmcnt(10)
	v_mul_f32_e32 v6, v9, v148
	v_addc_co_u32_e32 v1, vcc, v1, v3, vcc
	v_mul_f32_e32 v7, v8, v148
	v_fmac_f32_e32 v6, v8, v147
	v_add_co_u32_e32 v8, vcc, s14, v86
	v_fma_f32 v7, v9, v147, -v7
	v_addc_co_u32_e32 v9, vcc, 0, v87, vcc
	ds_write_b64 v185, v[6:7] offset:6400
	global_load_dwordx2 v[6:7], v[0:1], off
	v_add_co_u32_e32 v0, vcc, s17, v0
	v_addc_co_u32_e32 v1, vcc, v1, v3, vcc
	v_add_co_u32_e32 v20, vcc, s9, v86
	v_addc_co_u32_e32 v21, vcc, 0, v87, vcc
	global_load_dwordx2 v[159:160], v[20:21], off offset:1920
	global_load_dwordx2 v[18:19], v[0:1], off
	v_add_co_u32_e32 v0, vcc, s17, v0
	v_addc_co_u32_e32 v1, vcc, v1, v3, vcc
	v_add_co_u32_e32 v24, vcc, s8, v86
	v_addc_co_u32_e32 v25, vcc, 0, v87, vcc
	global_load_dwordx2 v[155:156], v[24:25], off offset:1024
	global_load_dwordx2 v[161:162], v[8:9], off offset:2816
	global_load_dwordx2 v[22:23], v[0:1], off
	v_add_co_u32_e32 v0, vcc, s17, v0
	v_addc_co_u32_e32 v1, vcc, v1, v3, vcc
	global_load_dwordx2 v[26:27], v[0:1], off
	v_add_co_u32_e32 v84, vcc, s18, v86
	v_mad_u64_u32 v[0:1], s[18:19], s12, v184, v[0:1]
	v_addc_co_u32_e32 v85, vcc, 0, v87, vcc
	global_load_dwordx2 v[153:154], v[84:85], off offset:128
	s_sub_i32 s12, s13, s12
	v_add_u32_e32 v1, s12, v1
	global_load_dwordx2 v[28:29], v[0:1], off
	v_add_co_u32_e32 v0, vcc, s17, v0
	v_addc_co_u32_e32 v1, vcc, v1, v3, vcc
	global_load_dwordx2 v[30:31], v[0:1], off
	v_add_co_u32_e32 v0, vcc, s17, v0
	v_addc_co_u32_e32 v1, vcc, v1, v3, vcc
	global_load_dwordx2 v[32:33], v[0:1], off
	v_add_co_u32_e32 v0, vcc, s17, v0
	v_addc_co_u32_e32 v1, vcc, v1, v3, vcc
	global_load_dwordx2 v[34:35], v[0:1], off
	v_add_co_u32_e32 v0, vcc, s17, v0
	v_addc_co_u32_e32 v1, vcc, v1, v3, vcc
	global_load_dwordx2 v[36:37], v[0:1], off
	global_load_dwordx2 v[141:142], v[14:15], off offset:2112
	v_add_co_u32_e32 v0, vcc, s17, v0
	v_addc_co_u32_e32 v1, vcc, v1, v3, vcc
	global_load_dwordx2 v[14:15], v[0:1], off
	global_load_dwordx2 v[138:139], v[8:9], off offset:1216
	v_add_co_u32_e32 v0, vcc, s17, v0
	v_addc_co_u32_e32 v1, vcc, v1, v3, vcc
	global_load_dwordx2 v[8:9], v[0:1], off
	global_load_dwordx2 v[136:137], v[20:21], off offset:3520
	global_load_dwordx2 v[143:144], v[20:21], off offset:320
	v_add_co_u32_e32 v0, vcc, s17, v0
	v_addc_co_u32_e32 v1, vcc, v1, v3, vcc
	global_load_dwordx2 v[20:21], v[0:1], off
	v_add_co_u32_e32 v0, vcc, s17, v0
	v_addc_co_u32_e32 v1, vcc, v1, v3, vcc
	global_load_dwordx2 v[38:39], v[0:1], off
	global_load_dwordx2 v[134:135], v[24:25], off offset:2624
	v_add_co_u32_e32 v0, vcc, s17, v0
	v_addc_co_u32_e32 v1, vcc, v1, v3, vcc
	global_load_dwordx2 v[24:25], v[0:1], off
	global_load_dwordx2 v[132:133], v[84:85], off offset:1728
	s_waitcnt vmcnt(32)
	v_mul_f32_e32 v0, v12, v146
	v_fma_f32 v3, v13, v145, -v0
	s_waitcnt vmcnt(26)
	v_mul_f32_e32 v0, v5, v158
	v_mul_f32_e32 v1, v4, v158
	v_fmac_f32_e32 v0, v4, v157
	v_fma_f32 v1, v5, v157, -v1
	ds_write_b64 v185, v[0:1] offset:12800
	s_waitcnt vmcnt(24)
	v_mul_f32_e32 v0, v11, v164
	v_mul_f32_e32 v1, v10, v164
	v_fmac_f32_e32 v0, v10, v163
	v_fma_f32 v1, v11, v163, -v1
	ds_write_b64 v185, v[0:1] offset:16000
	v_mul_f32_e32 v2, v13, v146
	v_fmac_f32_e32 v2, v12, v145
	ds_write_b64 v185, v[2:3] offset:9600
	s_movk_i32 s12, 0xcd
	s_waitcnt vmcnt(19)
	v_mul_f32_e32 v0, v7, v162
	v_mul_f32_e32 v1, v6, v162
	v_fmac_f32_e32 v0, v6, v161
	v_fma_f32 v1, v7, v161, -v1
	ds_write_b64 v185, v[0:1] offset:19200
	v_mul_f32_e32 v0, v19, v160
	v_mul_f32_e32 v1, v18, v160
	v_fmac_f32_e32 v0, v18, v159
	v_fma_f32 v1, v19, v159, -v1
	ds_write_b64 v185, v[0:1] offset:22400
	s_waitcnt vmcnt(18)
	v_mul_f32_e32 v0, v23, v156
	v_mul_f32_e32 v1, v22, v156
	v_fmac_f32_e32 v0, v22, v155
	v_fma_f32 v1, v23, v155, -v1
	ds_write_b64 v185, v[0:1] offset:25600
	s_waitcnt vmcnt(16)
	;; [unrolled: 6-line block ×3, first 2 shown]
	v_mul_f32_e32 v0, v29, v129
	v_mul_f32_e32 v1, v28, v129
	v_fmac_f32_e32 v0, v28, v128
	v_fma_f32 v1, v29, v128, -v1
	ds_write2_b64 v185, v[16:17], v[0:1] offset1:200
	s_waitcnt vmcnt(14)
	v_mul_f32_e32 v0, v31, v131
	v_mul_f32_e32 v1, v30, v131
	v_fmac_f32_e32 v0, v30, v130
	v_fma_f32 v1, v31, v130, -v1
	ds_write_b64 v185, v[0:1] offset:4800
	s_waitcnt vmcnt(13)
	v_mul_f32_e32 v0, v33, v127
	v_mul_f32_e32 v1, v32, v127
	v_fmac_f32_e32 v0, v32, v126
	v_fma_f32 v1, v33, v126, -v1
	ds_write_b64 v185, v[0:1] offset:8000
	;; [unrolled: 6-line block ×9, first 2 shown]
	s_waitcnt lgkmcnt(0)
	s_barrier
	ds_read2_b64 v[0:3], v185 offset1:200
	ds_read2_b64 v[28:31], v192 offset0:32 offset1:232
	ds_read2_b64 v[32:35], v190 offset1:200
	ds_read2_b64 v[36:39], v188 offset0:32 offset1:232
	;; [unrolled: 2-line block ×3, first 2 shown]
	ds_read2_b64 v[8:11], v191 offset0:48 offset1:248
	ds_read2_b64 v[12:15], v189 offset0:16 offset1:216
	s_waitcnt lgkmcnt(6)
	v_add_f32_e32 v16, v0, v28
	s_waitcnt lgkmcnt(5)
	v_add_f32_e32 v44, v16, v32
	v_add_f32_e32 v16, v1, v29
	s_waitcnt lgkmcnt(4)
	v_add_f32_e32 v24, v32, v36
	v_sub_f32_e32 v25, v28, v32
	s_waitcnt lgkmcnt(3)
	v_add_f32_e32 v27, v28, v40
	v_sub_f32_e32 v45, v32, v28
	v_add_f32_e32 v47, v16, v33
	v_sub_f32_e32 v16, v28, v40
	v_sub_f32_e32 v17, v32, v36
	v_add_f32_e32 v28, v2, v30
	v_add_f32_e32 v32, v44, v36
	v_sub_f32_e32 v26, v40, v36
	v_sub_f32_e32 v46, v36, v40
	v_add_f32_e32 v28, v28, v34
	v_add_f32_e32 v36, v32, v40
	s_waitcnt lgkmcnt(1)
	v_add_f32_e32 v32, v4, v8
	v_sub_f32_e32 v22, v29, v41
	v_sub_f32_e32 v23, v33, v37
	v_add_f32_e32 v18, v33, v37
	v_sub_f32_e32 v20, v29, v33
	v_add_f32_e32 v19, v29, v41
	;; [unrolled: 2-line block ×3, first 2 shown]
	v_sub_f32_e32 v50, v30, v34
	v_sub_f32_e32 v51, v34, v30
	v_add_f32_e32 v29, v3, v31
	v_sub_f32_e32 v53, v34, v38
	v_add_f32_e32 v33, v47, v37
	v_sub_f32_e32 v47, v42, v38
	v_sub_f32_e32 v60, v38, v42
	v_add_f32_e32 v34, v28, v38
	s_waitcnt lgkmcnt(0)
	v_add_f32_e32 v38, v32, v12
	v_add_f32_e32 v32, v5, v9
	;; [unrolled: 1-line block ×5, first 2 shown]
	v_sub_f32_e32 v49, v35, v39
	v_add_f32_e32 v52, v35, v39
	v_sub_f32_e32 v54, v31, v35
	v_sub_f32_e32 v55, v35, v31
	;; [unrolled: 1-line block ×4, first 2 shown]
	v_add_f32_e32 v35, v29, v39
	v_sub_f32_e32 v61, v43, v39
	v_sub_f32_e32 v62, v39, v43
	v_add_f32_e32 v39, v33, v41
	v_add_f32_e32 v41, v32, v14
	;; [unrolled: 1-line block ×3, first 2 shown]
	v_sub_f32_e32 v56, v31, v43
	v_add_f32_e32 v57, v30, v42
	v_sub_f32_e32 v58, v30, v42
	v_add_f32_e32 v59, v31, v43
	v_add_f32_e32 v42, v34, v42
	;; [unrolled: 1-line block ×4, first 2 shown]
	ds_read2_b64 v[32:35], v194 offset0:16 offset1:216
	ds_read2_b64 v[28:31], v187 offset0:48 offset1:248
	v_sub_f32_e32 v76, v11, v15
	v_sub_f32_e32 v77, v15, v11
	;; [unrolled: 1-line block ×3, first 2 shown]
	s_waitcnt lgkmcnt(1)
	v_sub_f32_e32 v78, v11, v35
	v_add_f32_e32 v81, v11, v35
	v_fma_f32 v11, -0.5, v24, v0
	v_mov_b32_e32 v24, v11
	v_fma_f32 v0, -0.5, v27, v0
	s_waitcnt lgkmcnt(0)
	v_add_f32_e32 v64, v12, v28
	v_sub_f32_e32 v73, v14, v10
	v_add_f32_e32 v79, v10, v34
	v_sub_f32_e32 v80, v10, v34
	v_add_f32_e32 v10, v25, v26
	v_fmac_f32_e32 v24, 0x3f737871, v22
	v_fmac_f32_e32 v11, 0xbf737871, v22
	v_mov_b32_e32 v25, v0
	v_fmac_f32_e32 v24, 0x3f167918, v23
	v_fmac_f32_e32 v11, 0xbf167918, v23
	;; [unrolled: 1-line block ×4, first 2 shown]
	v_fma_f32 v27, -0.5, v64, v4
	v_add_f32_e32 v70, v14, v30
	v_sub_f32_e32 v71, v15, v31
	v_add_f32_e32 v74, v15, v31
	v_sub_f32_e32 v75, v14, v30
	v_sub_f32_e32 v14, v9, v33
	v_add_f32_e32 v15, v8, v32
	v_fmac_f32_e32 v24, 0x3e9e377a, v10
	v_fmac_f32_e32 v11, 0x3e9e377a, v10
	v_add_f32_e32 v10, v45, v46
	v_fmac_f32_e32 v25, 0x3f167918, v22
	v_fmac_f32_e32 v0, 0xbf167918, v22
	v_mov_b32_e32 v23, v27
	v_sub_f32_e32 v65, v13, v29
	v_sub_f32_e32 v66, v8, v12
	v_fmac_f32_e32 v25, 0x3e9e377a, v10
	v_fmac_f32_e32 v0, 0x3e9e377a, v10
	v_sub_f32_e32 v10, v32, v28
	v_fmac_f32_e32 v23, 0x3f737871, v14
	v_fmac_f32_e32 v27, 0xbf737871, v14
	v_fma_f32 v4, -0.5, v15, v4
	v_add_f32_e32 v68, v13, v29
	v_add_f32_e32 v10, v66, v10
	v_fmac_f32_e32 v23, 0x3f167918, v65
	v_fmac_f32_e32 v27, 0xbf167918, v65
	v_mov_b32_e32 v15, v4
	v_sub_f32_e32 v67, v12, v8
	v_fmac_f32_e32 v23, 0x3e9e377a, v10
	v_fmac_f32_e32 v27, 0x3e9e377a, v10
	v_sub_f32_e32 v10, v28, v32
	v_fmac_f32_e32 v15, 0xbf737871, v65
	v_fmac_f32_e32 v4, 0x3f737871, v65
	v_fma_f32 v45, -0.5, v68, v5
	v_sub_f32_e32 v69, v9, v13
	v_sub_f32_e32 v13, v13, v9
	;; [unrolled: 1-line block ×3, first 2 shown]
	v_add_f32_e32 v9, v9, v33
	v_add_f32_e32 v10, v67, v10
	v_fmac_f32_e32 v15, 0x3f167918, v14
	v_fmac_f32_e32 v4, 0xbf167918, v14
	v_mov_b32_e32 v46, v45
	v_sub_f32_e32 v12, v12, v28
	v_fmac_f32_e32 v15, 0x3e9e377a, v10
	v_fmac_f32_e32 v4, 0x3e9e377a, v10
	v_sub_f32_e32 v10, v33, v29
	v_fmac_f32_e32 v46, 0xbf737871, v8
	v_fmac_f32_e32 v45, 0x3f737871, v8
	v_fma_f32 v5, -0.5, v9, v5
	v_add_f32_e32 v10, v69, v10
	v_fmac_f32_e32 v46, 0xbf167918, v12
	v_fmac_f32_e32 v45, 0x3f167918, v12
	v_mov_b32_e32 v64, v5
	v_fmac_f32_e32 v46, 0x3e9e377a, v10
	v_fmac_f32_e32 v45, 0x3e9e377a, v10
	v_sub_f32_e32 v10, v29, v33
	v_fmac_f32_e32 v64, 0x3f737871, v12
	v_fmac_f32_e32 v5, 0xbf737871, v12
	v_add_f32_e32 v10, v13, v10
	v_fmac_f32_e32 v64, 0xbf167918, v8
	v_fmac_f32_e32 v5, 0x3f167918, v8
	v_add_f32_e32 v8, v38, v28
	v_fmac_f32_e32 v5, 0x3e9e377a, v10
	v_add_f32_e32 v9, v8, v32
	v_mul_f32_e32 v12, 0x3f4f1bbd, v23
	v_mul_f32_e32 v32, 0xbe9e377a, v4
	v_fmac_f32_e32 v64, 0x3e9e377a, v10
	v_fmac_f32_e32 v12, 0x3f167918, v46
	;; [unrolled: 1-line block ×3, first 2 shown]
	v_add_f32_e32 v8, v36, v9
	v_add_f32_e32 v10, v24, v12
	v_mul_f32_e32 v13, 0x3f737871, v64
	v_sub_f32_e32 v12, v24, v12
	v_add_f32_e32 v24, v0, v32
	v_sub_f32_e32 v28, v36, v9
	v_sub_f32_e32 v36, v0, v32
	v_add_f32_e32 v0, v40, v29
	v_fmac_f32_e32 v13, 0x3e9e377a, v15
	v_add_f32_e32 v0, v0, v33
	v_fma_f32 v18, -0.5, v18, v1
	v_sub_f32_e32 v14, v25, v13
	v_add_f32_e32 v22, v25, v13
	v_mul_f32_e32 v13, 0xbf4f1bbd, v27
	v_add_f32_e32 v9, v39, v0
	v_sub_f32_e32 v29, v39, v0
	v_add_f32_e32 v0, v20, v44
	v_mov_b32_e32 v20, v18
	v_fmac_f32_e32 v13, 0x3f167918, v45
	v_fmac_f32_e32 v20, 0xbf737871, v16
	v_add_f32_e32 v26, v11, v13
	v_sub_f32_e32 v38, v11, v13
	v_mul_f32_e32 v13, 0xbf167918, v23
	v_fmac_f32_e32 v20, 0xbf167918, v17
	v_fma_f32 v1, -0.5, v19, v1
	v_fmac_f32_e32 v13, 0x3f4f1bbd, v46
	v_fmac_f32_e32 v20, 0x3e9e377a, v0
	v_mov_b32_e32 v19, v1
	v_fmac_f32_e32 v1, 0xbf737871, v17
	v_add_f32_e32 v11, v20, v13
	v_sub_f32_e32 v13, v20, v13
	v_add_f32_e32 v20, v21, v37
	v_fmac_f32_e32 v1, 0x3f167918, v16
	v_mul_f32_e32 v5, 0xbe9e377a, v5
	v_fmac_f32_e32 v19, 0x3f737871, v17
	v_fmac_f32_e32 v1, 0x3e9e377a, v20
	;; [unrolled: 1-line block ×5, first 2 shown]
	v_add_f32_e32 v25, v1, v5
	v_sub_f32_e32 v37, v1, v5
	v_fmac_f32_e32 v18, 0x3f167918, v17
	v_fma_f32 v1, -0.5, v48, v2
	v_fmac_f32_e32 v19, 0x3e9e377a, v20
	v_fmac_f32_e32 v18, 0x3e9e377a, v0
	v_mul_f32_e32 v0, 0xbf4f1bbd, v45
	v_mov_b32_e32 v20, v1
	v_fma_f32 v2, -0.5, v57, v2
	v_fmac_f32_e32 v0, 0xbf167918, v27
	v_fmac_f32_e32 v20, 0x3f737871, v56
	;; [unrolled: 1-line block ×3, first 2 shown]
	v_mov_b32_e32 v21, v2
	v_fma_f32 v33, -0.5, v52, v3
	v_add_f32_e32 v27, v18, v0
	v_sub_f32_e32 v39, v18, v0
	v_add_f32_e32 v0, v50, v47
	v_fmac_f32_e32 v20, 0x3f167918, v49
	v_fmac_f32_e32 v1, 0xbf167918, v49
	;; [unrolled: 1-line block ×4, first 2 shown]
	v_mov_b32_e32 v45, v33
	v_fmac_f32_e32 v3, -0.5, v59
	v_fmac_f32_e32 v20, 0x3e9e377a, v0
	v_fmac_f32_e32 v1, 0x3e9e377a, v0
	v_add_f32_e32 v0, v51, v60
	v_fmac_f32_e32 v21, 0x3f167918, v56
	v_fmac_f32_e32 v2, 0xbf167918, v56
	;; [unrolled: 1-line block ×4, first 2 shown]
	v_mov_b32_e32 v47, v3
	v_mul_f32_e32 v15, 0xbf737871, v15
	v_fmac_f32_e32 v21, 0x3e9e377a, v0
	v_fmac_f32_e32 v2, 0x3e9e377a, v0
	v_add_f32_e32 v0, v54, v61
	v_fmac_f32_e32 v45, 0xbf167918, v53
	v_fmac_f32_e32 v33, 0x3f167918, v53
	v_fmac_f32_e32 v47, 0x3f737871, v53
	v_fmac_f32_e32 v3, 0xbf737871, v53
	v_fma_f32 v44, -0.5, v70, v6
	v_fmac_f32_e32 v15, 0x3e9e377a, v64
	v_fmac_f32_e32 v45, 0x3e9e377a, v0
	;; [unrolled: 1-line block ×3, first 2 shown]
	v_add_f32_e32 v0, v55, v62
	v_fmac_f32_e32 v47, 0xbf167918, v58
	v_fmac_f32_e32 v3, 0x3f167918, v58
	v_mov_b32_e32 v5, v44
	v_add_f32_e32 v23, v19, v15
	v_sub_f32_e32 v15, v19, v15
	v_fmac_f32_e32 v47, 0x3e9e377a, v0
	v_fmac_f32_e32 v3, 0x3e9e377a, v0
	v_sub_f32_e32 v0, v34, v30
	v_fmac_f32_e32 v5, 0x3f737871, v78
	v_fmac_f32_e32 v44, 0xbf737871, v78
	v_fma_f32 v19, -0.5, v79, v6
	v_add_f32_e32 v0, v72, v0
	v_fmac_f32_e32 v5, 0x3f167918, v71
	v_fmac_f32_e32 v44, 0xbf167918, v71
	v_mov_b32_e32 v17, v19
	v_fmac_f32_e32 v5, 0x3e9e377a, v0
	v_fmac_f32_e32 v44, 0x3e9e377a, v0
	v_sub_f32_e32 v0, v30, v34
	v_fmac_f32_e32 v17, 0xbf737871, v71
	v_fmac_f32_e32 v19, 0x3f737871, v71
	v_add_f32_e32 v0, v73, v0
	v_fmac_f32_e32 v17, 0x3f167918, v78
	v_fmac_f32_e32 v19, 0xbf167918, v78
	v_add_f32_e32 v4, v41, v30
	;; [unrolled: 3-line block ×3, first 2 shown]
	v_add_f32_e32 v30, v4, v34
	v_add_f32_e32 v34, v0, v35
	v_fma_f32 v0, -0.5, v74, v7
	v_mov_b32_e32 v40, v0
	v_sub_f32_e32 v4, v35, v31
	v_fmac_f32_e32 v40, 0xbf737871, v80
	v_fmac_f32_e32 v0, 0x3f737871, v80
	v_add_f32_e32 v4, v76, v4
	v_fmac_f32_e32 v40, 0xbf167918, v75
	v_fmac_f32_e32 v0, 0x3f167918, v75
	v_fmac_f32_e32 v7, -0.5, v81
	v_fmac_f32_e32 v40, 0x3e9e377a, v4
	v_fmac_f32_e32 v0, 0x3e9e377a, v4
	v_mov_b32_e32 v41, v7
	v_sub_f32_e32 v4, v31, v35
	v_mul_f32_e32 v31, 0x3f4f1bbd, v5
	v_fmac_f32_e32 v41, 0x3f737871, v75
	v_fmac_f32_e32 v7, 0xbf737871, v75
	;; [unrolled: 1-line block ×3, first 2 shown]
	v_mul_f32_e32 v53, 0xbf4f1bbd, v0
	v_fmac_f32_e32 v41, 0xbf167918, v80
	v_add_f32_e32 v4, v77, v4
	v_fmac_f32_e32 v7, 0x3f167918, v80
	v_add_f32_e32 v6, v20, v31
	v_mul_f32_e32 v49, 0xbf4f1bbd, v44
	v_fmac_f32_e32 v53, 0xbf167918, v44
	v_sub_f32_e32 v44, v20, v31
	v_mul_lo_u16_e32 v20, 10, v183
	v_add_co_u32_e32 v32, vcc, s16, v183
	v_fmac_f32_e32 v41, 0x3e9e377a, v4
	v_fmac_f32_e32 v7, 0x3e9e377a, v4
	v_mul_f32_e32 v48, 0xbe9e377a, v19
	v_mul_f32_e32 v50, 0xbf167918, v5
	v_lshlrev_b32_e32 v199, 3, v20
	v_mul_f32_e32 v35, 0x3f737871, v41
	v_fmac_f32_e32 v48, 0x3f737871, v7
	v_fmac_f32_e32 v50, 0x3f4f1bbd, v40
	v_mul_f32_e32 v51, 0xbe9e377a, v7
	v_mul_f32_e32 v52, 0xbf737871, v17
	s_barrier
	ds_write_b128 v199, v[8:11]
	ds_write_b128 v199, v[22:25] offset:16
	ds_write_b128 v199, v[26:29] offset:32
	;; [unrolled: 1-line block ×4, first 2 shown]
	v_mul_u32_u24_e32 v8, 10, v32
	v_add_f32_e32 v4, v42, v30
	v_fmac_f32_e32 v35, 0x3e9e377a, v17
	v_fmac_f32_e32 v49, 0x3f167918, v0
	v_add_f32_e32 v5, v43, v34
	v_add_f32_e32 v7, v45, v50
	v_fmac_f32_e32 v52, 0x3e9e377a, v41
	v_fmac_f32_e32 v51, 0xbf737871, v19
	v_sub_f32_e32 v0, v2, v48
	v_lshlrev_b32_e32 v196, 3, v8
	v_add_f32_e32 v16, v21, v35
	v_add_f32_e32 v18, v2, v48
	v_add_f32_e32 v40, v1, v49
	v_add_f32_e32 v17, v47, v52
	v_add_f32_e32 v19, v3, v51
	v_add_f32_e32 v41, v33, v53
	v_sub_f32_e32 v42, v42, v30
	v_sub_f32_e32 v46, v21, v35
	;; [unrolled: 1-line block ×8, first 2 shown]
	ds_write_b128 v196, v[4:7]
	ds_write_b128 v196, v[16:19] offset:16
	ds_write_b128 v196, v[40:43] offset:32
	;; [unrolled: 1-line block ×4, first 2 shown]
	v_mul_lo_u16_sdwa v0, v183, s12 dst_sel:DWORD dst_unused:UNUSED_PAD src0_sel:BYTE_0 src1_sel:DWORD
	v_lshrrev_b16_e32 v54, 11, v0
	v_mul_lo_u16_e32 v0, 10, v54
	v_sub_u16_e32 v0, v183, v0
	v_and_b32_e32 v55, 0xff, v0
	v_mov_b32_e32 v0, s10
	s_movk_i32 s12, 0x48
	v_mov_b32_e32 v1, s11
	v_mad_u64_u32 v[36:37], s[12:13], v55, s12, v[0:1]
	s_waitcnt lgkmcnt(0)
	s_barrier
	global_load_dwordx4 v[12:15], v[36:37], off
	s_mov_b32 s12, 0xcccd
	v_mul_u32_u24_sdwa v0, v32, s12 dst_sel:DWORD dst_unused:UNUSED_PAD src0_sel:WORD_0 src1_sel:DWORD
	v_lshrrev_b32_e32 v34, 19, v0
	v_mul_lo_u16_e32 v0, 10, v34
	v_sub_u16_e32 v35, v32, v0
	v_mul_lo_u16_e32 v0, 0x48, v35
	v_mov_b32_e32 v33, s11
	v_add_co_u32_e32 v38, vcc, s10, v0
	v_addc_co_u32_e32 v39, vcc, 0, v33, vcc
	global_load_dwordx4 v[20:23], v[38:39], off
	global_load_dwordx4 v[16:19], v[36:37], off offset:16
	global_load_dwordx4 v[8:11], v[38:39], off offset:16
	;; [unrolled: 1-line block ×6, first 2 shown]
	global_load_dwordx2 v[167:168], v[36:37], off offset:64
	global_load_dwordx2 v[165:166], v[38:39], off offset:64
	ds_read2_b64 v[36:39], v193 offset0:16 offset1:216
	ds_read2_b64 v[40:43], v192 offset0:32 offset1:232
	ds_read2_b64 v[44:47], v191 offset0:48 offset1:248
	ds_read2_b64 v[48:51], v190 offset1:200
	ds_read2_b64 v[72:75], v187 offset0:48 offset1:248
	ds_read2_b64 v[76:79], v186 offset1:200
	v_mul_u32_u24_e32 v54, 0x64, v54
	v_add_lshl_u32 v195, v54, v55, 3
	s_movk_i32 s12, 0x64
	v_cmp_gt_u16_e32 vcc, s12, v183
	s_waitcnt vmcnt(9) lgkmcnt(5)
	v_mul_f32_e32 v52, v37, v13
	v_fma_f32 v56, v36, v12, -v52
	v_mul_f32_e32 v57, v36, v13
	s_waitcnt lgkmcnt(4)
	v_mul_f32_e32 v36, v41, v15
	v_fma_f32 v62, v40, v14, -v36
	s_waitcnt vmcnt(8)
	v_mul_f32_e32 v36, v39, v21
	v_fmac_f32_e32 v57, v37, v12
	v_fma_f32 v36, v38, v20, -v36
	v_mul_f32_e32 v37, v38, v21
	s_waitcnt vmcnt(7) lgkmcnt(3)
	v_mul_f32_e32 v38, v45, v17
	v_fmac_f32_e32 v37, v39, v20
	v_fma_f32 v59, v44, v16, -v38
	v_mul_f32_e32 v38, v43, v23
	s_waitcnt lgkmcnt(2)
	v_mul_f32_e32 v39, v49, v19
	v_mul_f32_e32 v60, v40, v15
	v_fma_f32 v38, v42, v22, -v38
	v_mul_f32_e32 v42, v42, v23
	v_fma_f32 v66, v48, v18, -v39
	v_mul_f32_e32 v64, v48, v19
	s_waitcnt vmcnt(6)
	v_mul_f32_e32 v39, v47, v9
	v_mul_f32_e32 v40, v46, v9
	;; [unrolled: 1-line block ×3, first 2 shown]
	v_fmac_f32_e32 v42, v43, v22
	v_fmac_f32_e32 v64, v49, v18
	v_fma_f32 v43, v46, v8, -v39
	v_fmac_f32_e32 v40, v47, v8
	ds_read2_b64 v[46:49], v189 offset0:16 offset1:216
	v_fmac_f32_e32 v58, v45, v16
	v_mul_f32_e32 v39, v51, v11
	v_mul_f32_e32 v45, v50, v11
	v_fma_f32 v39, v50, v10, -v39
	v_fmac_f32_e32 v45, v51, v10
	ds_read2_b64 v[50:53], v188 offset0:32 offset1:232
	v_fmac_f32_e32 v60, v41, v14
	s_waitcnt vmcnt(5) lgkmcnt(1)
	v_mul_f32_e32 v41, v47, v5
	v_mul_f32_e32 v61, v46, v5
	v_fma_f32 v63, v46, v4, -v41
	v_fmac_f32_e32 v61, v47, v4
	s_waitcnt vmcnt(4)
	v_mul_f32_e32 v41, v49, v1
	s_waitcnt vmcnt(3)
	v_mul_f32_e32 v47, v73, v25
	v_fma_f32 v46, v48, v0, -v41
	s_waitcnt lgkmcnt(0)
	v_mul_f32_e32 v41, v51, v7
	v_fma_f32 v68, v72, v24, -v47
	v_mul_f32_e32 v65, v72, v25
	s_waitcnt vmcnt(2)
	v_mul_f32_e32 v47, v75, v29
	v_mul_f32_e32 v44, v48, v1
	v_fma_f32 v71, v50, v6, -v41
	v_mul_f32_e32 v69, v50, v7
	v_fmac_f32_e32 v65, v73, v24
	v_fma_f32 v50, v74, v28, -v47
	v_mul_f32_e32 v48, v74, v29
	v_mul_f32_e32 v47, v77, v27
	;; [unrolled: 1-line block ×3, first 2 shown]
	v_fmac_f32_e32 v48, v75, v28
	v_fma_f32 v80, v76, v26, -v47
	v_fmac_f32_e32 v73, v77, v26
	ds_read2_b64 v[74:77], v194 offset0:16 offset1:216
	v_fmac_f32_e32 v69, v51, v6
	v_sub_f32_e32 v67, v62, v66
	v_fmac_f32_e32 v44, v49, v0
	v_mul_f32_e32 v49, v52, v3
	s_waitcnt vmcnt(1) lgkmcnt(0)
	v_mul_f32_e32 v51, v75, v168
	v_fma_f32 v72, v74, v167, -v51
	v_mul_f32_e32 v70, v74, v168
	v_sub_f32_e32 v74, v80, v71
	v_fmac_f32_e32 v70, v75, v167
	v_add_f32_e32 v67, v67, v74
	v_sub_f32_e32 v74, v60, v64
	v_sub_f32_e32 v75, v73, v69
	v_add_f32_e32 v81, v74, v75
	v_sub_f32_e32 v74, v59, v63
	v_sub_f32_e32 v75, v72, v68
	;; [unrolled: 3-line block ×3, first 2 shown]
	s_waitcnt vmcnt(0)
	v_mul_f32_e32 v51, v77, v166
	v_add_f32_e32 v83, v74, v75
	v_add_f32_e32 v74, v63, v68
	v_mul_f32_e32 v41, v53, v3
	v_fmac_f32_e32 v49, v53, v2
	v_fma_f32 v53, v76, v165, -v51
	v_mul_f32_e32 v51, v76, v166
	v_fma_f32 v88, -0.5, v74, v56
	v_add_f32_e32 v74, v61, v65
	v_fmac_f32_e32 v51, v77, v165
	v_fma_f32 v91, -0.5, v74, v57
	ds_read2_b64 v[74:77], v185 offset1:200
	v_fma_f32 v41, v52, v2, -v41
	v_mul_f32_e32 v47, v79, v31
	v_mul_f32_e32 v52, v78, v31
	v_fma_f32 v47, v78, v30, -v47
	s_waitcnt lgkmcnt(0)
	v_add_f32_e32 v54, v74, v62
	v_add_f32_e32 v54, v54, v66
	;; [unrolled: 1-line block ×5, first 2 shown]
	v_fma_f32 v97, -0.5, v54, v74
	v_add_f32_e32 v54, v75, v60
	v_add_f32_e32 v54, v54, v64
	;; [unrolled: 1-line block ×5, first 2 shown]
	v_fma_f32 v102, -0.5, v54, v75
	v_add_f32_e32 v54, v56, v59
	v_fmac_f32_e32 v52, v79, v30
	v_sub_f32_e32 v89, v58, v70
	v_mov_b32_e32 v78, v88
	v_sub_f32_e32 v92, v59, v72
	v_mov_b32_e32 v79, v91
	v_add_f32_e32 v54, v54, v63
	v_fmac_f32_e32 v78, 0x3f737871, v89
	v_sub_f32_e32 v90, v61, v65
	v_fmac_f32_e32 v79, 0xbf737871, v92
	v_sub_f32_e32 v93, v63, v68
	v_add_f32_e32 v54, v54, v68
	v_fmac_f32_e32 v78, 0x3f167918, v90
	v_fmac_f32_e32 v79, 0xbf167918, v93
	v_sub_f32_e32 v98, v60, v73
	v_mov_b32_e32 v99, v97
	v_sub_f32_e32 v103, v62, v80
	v_mov_b32_e32 v104, v102
	v_add_f32_e32 v106, v54, v72
	v_add_f32_e32 v54, v57, v58
	v_fmac_f32_e32 v78, 0x3e9e377a, v82
	v_fmac_f32_e32 v79, 0x3e9e377a, v83
	;; [unrolled: 1-line block ×3, first 2 shown]
	v_sub_f32_e32 v100, v64, v69
	v_fmac_f32_e32 v104, 0xbf737871, v103
	v_sub_f32_e32 v105, v66, v71
	v_add_f32_e32 v54, v54, v61
	v_mul_f32_e32 v94, 0x3f167918, v79
	v_mul_f32_e32 v95, 0xbf167918, v78
	v_fmac_f32_e32 v99, 0x3f167918, v100
	v_fmac_f32_e32 v104, 0xbf167918, v105
	v_add_f32_e32 v54, v54, v65
	v_fmac_f32_e32 v94, 0x3f4f1bbd, v78
	v_fmac_f32_e32 v95, 0x3f4f1bbd, v79
	;; [unrolled: 1-line block ×4, first 2 shown]
	v_add_f32_e32 v107, v54, v70
	v_add_f32_e32 v54, v96, v106
	;; [unrolled: 1-line block ×5, first 2 shown]
	s_barrier
	ds_write2_b64 v195, v[54:55], v[78:79] offset1:10
	v_sub_f32_e32 v54, v66, v62
	v_add_f32_e32 v55, v62, v80
	v_sub_f32_e32 v62, v71, v80
	v_add_f32_e32 v54, v54, v62
	v_fma_f32 v62, -0.5, v55, v74
	v_mov_b32_e32 v66, v62
	v_fmac_f32_e32 v66, 0xbf737871, v100
	v_fmac_f32_e32 v62, 0x3f737871, v100
	;; [unrolled: 1-line block ×6, first 2 shown]
	v_sub_f32_e32 v54, v64, v60
	v_add_f32_e32 v55, v60, v73
	v_sub_f32_e32 v60, v69, v73
	v_add_f32_e32 v54, v54, v60
	v_fma_f32 v60, -0.5, v55, v75
	v_mov_b32_e32 v64, v60
	v_fmac_f32_e32 v64, 0x3f737871, v105
	v_fmac_f32_e32 v60, 0xbf737871, v105
	;; [unrolled: 1-line block ×6, first 2 shown]
	v_add_f32_e32 v54, v59, v72
	v_fmac_f32_e32 v56, -0.5, v54
	v_sub_f32_e32 v54, v63, v59
	v_sub_f32_e32 v55, v68, v72
	v_add_f32_e32 v54, v54, v55
	v_mov_b32_e32 v55, v56
	v_fmac_f32_e32 v55, 0xbf737871, v90
	v_fmac_f32_e32 v56, 0x3f737871, v90
	;; [unrolled: 1-line block ×6, first 2 shown]
	v_add_f32_e32 v54, v58, v70
	v_fmac_f32_e32 v57, -0.5, v54
	v_sub_f32_e32 v54, v61, v58
	v_sub_f32_e32 v58, v65, v70
	v_add_f32_e32 v54, v54, v58
	v_mov_b32_e32 v58, v57
	v_fmac_f32_e32 v58, 0x3f737871, v93
	v_fmac_f32_e32 v57, 0xbf737871, v93
	;; [unrolled: 1-line block ×8, first 2 shown]
	v_mul_f32_e32 v61, 0xbf737871, v55
	v_fmac_f32_e32 v97, 0xbf737871, v98
	v_fmac_f32_e32 v88, 0xbf167918, v90
	v_fmac_f32_e32 v91, 0x3f167918, v93
	v_mul_f32_e32 v59, 0x3f737871, v58
	v_fmac_f32_e32 v61, 0x3e9e377a, v58
	v_mul_f32_e32 v58, 0xbe9e377a, v56
	v_mul_f32_e32 v63, 0xbe9e377a, v57
	v_fmac_f32_e32 v97, 0xbf167918, v100
	v_fmac_f32_e32 v102, 0x3f737871, v103
	;; [unrolled: 1-line block ×9, first 2 shown]
	v_mul_f32_e32 v65, 0xbf4f1bbd, v88
	v_mul_f32_e32 v67, 0xbf4f1bbd, v91
	v_add_f32_e32 v54, v66, v59
	v_add_f32_e32 v55, v64, v61
	;; [unrolled: 1-line block ×4, first 2 shown]
	v_fmac_f32_e32 v102, 0x3e9e377a, v81
	v_fmac_f32_e32 v65, 0x3f167918, v91
	;; [unrolled: 1-line block ×3, first 2 shown]
	ds_write2_b64 v195, v[54:55], v[56:57] offset0:20 offset1:30
	v_sub_f32_e32 v54, v96, v106
	v_sub_f32_e32 v55, v101, v107
	v_add_f32_e32 v56, v97, v65
	v_add_f32_e32 v57, v102, v67
	ds_write2_b64 v195, v[56:57], v[54:55] offset0:40 offset1:50
	v_sub_f32_e32 v54, v99, v94
	v_sub_f32_e32 v55, v104, v95
	;; [unrolled: 1-line block ×4, first 2 shown]
	v_mad_legacy_u16 v68, v34, s12, v35
	v_add_f32_e32 v34, v45, v49
	ds_write2_b64 v195, v[54:55], v[56:57] offset0:60 offset1:70
	v_sub_f32_e32 v54, v62, v58
	v_sub_f32_e32 v55, v60, v63
	;; [unrolled: 1-line block ×4, first 2 shown]
	v_fma_f32 v69, -0.5, v34, v77
	v_add_f32_e32 v34, v39, v41
	ds_write2_b64 v195, v[54:55], v[56:57] offset0:80 offset1:90
	v_sub_f32_e32 v54, v38, v39
	v_sub_f32_e32 v55, v47, v41
	v_fma_f32 v70, -0.5, v34, v76
	v_add_f32_e32 v34, v76, v38
	v_add_f32_e32 v56, v54, v55
	v_sub_f32_e32 v54, v42, v45
	v_sub_f32_e32 v55, v52, v49
	v_add_f32_e32 v34, v34, v39
	v_add_f32_e32 v57, v54, v55
	v_sub_f32_e32 v54, v43, v46
	v_sub_f32_e32 v55, v53, v50
	v_add_f32_e32 v34, v34, v41
	v_add_f32_e32 v58, v54, v55
	v_sub_f32_e32 v54, v40, v44
	v_sub_f32_e32 v55, v51, v48
	v_add_f32_e32 v74, v34, v47
	v_add_f32_e32 v34, v77, v42
	;; [unrolled: 1-line block ×5, first 2 shown]
	v_fma_f32 v60, -0.5, v54, v36
	v_add_f32_e32 v54, v44, v48
	v_add_f32_e32 v34, v34, v49
	v_fma_f32 v61, -0.5, v54, v37
	v_add_f32_e32 v75, v34, v52
	v_add_f32_e32 v34, v36, v43
	v_sub_f32_e32 v62, v40, v51
	v_mov_b32_e32 v54, v60
	v_sub_f32_e32 v64, v43, v53
	v_mov_b32_e32 v55, v61
	v_add_f32_e32 v34, v34, v46
	v_fmac_f32_e32 v54, 0x3f737871, v62
	v_sub_f32_e32 v63, v44, v48
	v_fmac_f32_e32 v55, 0xbf737871, v64
	v_sub_f32_e32 v65, v46, v50
	v_add_f32_e32 v34, v34, v50
	v_fmac_f32_e32 v54, 0x3f167918, v63
	v_fmac_f32_e32 v55, 0xbf167918, v65
	v_sub_f32_e32 v71, v42, v52
	v_mov_b32_e32 v72, v70
	v_sub_f32_e32 v78, v38, v47
	v_mov_b32_e32 v79, v69
	v_add_f32_e32 v81, v34, v53
	v_add_f32_e32 v34, v37, v40
	v_fmac_f32_e32 v54, 0x3e9e377a, v58
	v_fmac_f32_e32 v55, 0x3e9e377a, v59
	;; [unrolled: 1-line block ×3, first 2 shown]
	v_sub_f32_e32 v73, v45, v49
	v_fmac_f32_e32 v79, 0xbf737871, v78
	v_sub_f32_e32 v80, v39, v41
	v_add_f32_e32 v34, v34, v44
	v_mul_f32_e32 v66, 0x3f167918, v55
	v_mul_f32_e32 v67, 0xbf167918, v54
	v_fmac_f32_e32 v72, 0x3f167918, v73
	v_fmac_f32_e32 v79, 0xbf167918, v80
	v_add_f32_e32 v34, v34, v48
	v_fmac_f32_e32 v66, 0x3f4f1bbd, v54
	v_fmac_f32_e32 v67, 0x3f4f1bbd, v55
	;; [unrolled: 1-line block ×4, first 2 shown]
	v_add_f32_e32 v82, v34, v51
	v_add_f32_e32 v34, v74, v81
	v_add_f32_e32 v35, v75, v82
	v_add_f32_e32 v54, v72, v66
	v_add_f32_e32 v55, v79, v67
	v_lshlrev_b32_e32 v200, 3, v68
	ds_write2_b64 v200, v[34:35], v[54:55] offset1:10
	v_add_f32_e32 v34, v42, v52
	v_fmac_f32_e32 v77, -0.5, v34
	v_sub_f32_e32 v34, v45, v42
	v_sub_f32_e32 v35, v49, v52
	v_add_f32_e32 v45, v34, v35
	v_add_f32_e32 v34, v43, v53
	v_fmac_f32_e32 v36, -0.5, v34
	v_sub_f32_e32 v34, v46, v43
	v_sub_f32_e32 v35, v50, v53
	v_add_f32_e32 v43, v34, v35
	v_add_f32_e32 v34, v40, v51
	v_fmac_f32_e32 v37, -0.5, v34
	v_sub_f32_e32 v34, v44, v40
	v_sub_f32_e32 v35, v48, v51
	v_mov_b32_e32 v49, v37
	v_fmac_f32_e32 v37, 0xbf737871, v65
	v_add_f32_e32 v44, v34, v35
	v_mov_b32_e32 v48, v36
	v_fmac_f32_e32 v36, 0x3f737871, v63
	v_fmac_f32_e32 v37, 0x3f167918, v64
	v_add_f32_e32 v34, v38, v47
	v_mov_b32_e32 v46, v77
	v_fmac_f32_e32 v77, 0xbf737871, v80
	v_fmac_f32_e32 v36, 0xbf167918, v62
	;; [unrolled: 1-line block ×3, first 2 shown]
	v_fma_f32 v42, -0.5, v34, v76
	v_fmac_f32_e32 v77, 0x3f167918, v78
	v_fmac_f32_e32 v36, 0x3e9e377a, v43
	v_mul_f32_e32 v34, 0xbe9e377a, v37
	v_fmac_f32_e32 v77, 0x3e9e377a, v45
	v_fmac_f32_e32 v34, 0xbf737871, v36
	v_add_f32_e32 v35, v77, v34
	v_sub_f32_e32 v40, v77, v34
	v_sub_f32_e32 v34, v39, v38
	;; [unrolled: 1-line block ×3, first 2 shown]
	v_mov_b32_e32 v47, v42
	v_fmac_f32_e32 v49, 0x3f737871, v65
	v_fmac_f32_e32 v42, 0x3f737871, v73
	v_fmac_f32_e32 v47, 0xbf737871, v73
	v_fmac_f32_e32 v48, 0xbf737871, v63
	v_fmac_f32_e32 v49, 0xbf167918, v64
	v_add_f32_e32 v38, v34, v38
	v_fmac_f32_e32 v42, 0xbf167918, v71
	v_fmac_f32_e32 v47, 0x3f167918, v71
	v_fmac_f32_e32 v48, 0x3f167918, v62
	v_fmac_f32_e32 v49, 0x3e9e377a, v44
	v_fmac_f32_e32 v60, 0xbf737871, v62
	v_fmac_f32_e32 v61, 0x3f737871, v64
	v_fmac_f32_e32 v42, 0x3e9e377a, v38
	v_fmac_f32_e32 v47, 0x3e9e377a, v38
	v_fmac_f32_e32 v46, 0x3f737871, v80
	v_fmac_f32_e32 v48, 0x3e9e377a, v43
	v_mul_f32_e32 v38, 0x3f737871, v49
	v_fmac_f32_e32 v60, 0xbf167918, v63
	v_fmac_f32_e32 v61, 0x3f167918, v65
	v_mul_f32_e32 v36, 0xbe9e377a, v36
	v_fmac_f32_e32 v46, 0xbf167918, v78
	v_fmac_f32_e32 v38, 0x3e9e377a, v48
	;; [unrolled: 3-line block ×3, first 2 shown]
	v_fmac_f32_e32 v60, 0x3e9e377a, v58
	v_fmac_f32_e32 v61, 0x3e9e377a, v59
	;; [unrolled: 1-line block ×5, first 2 shown]
	v_add_f32_e32 v43, v47, v38
	v_sub_f32_e32 v45, v47, v38
	v_fmac_f32_e32 v70, 0xbf167918, v73
	v_fmac_f32_e32 v69, 0x3f167918, v80
	v_mul_f32_e32 v38, 0xbf4f1bbd, v60
	v_mul_f32_e32 v50, 0xbf4f1bbd, v61
	v_add_f32_e32 v34, v42, v36
	v_add_f32_e32 v44, v46, v48
	v_fmac_f32_e32 v70, 0x3e9e377a, v56
	v_fmac_f32_e32 v69, 0x3e9e377a, v57
	;; [unrolled: 1-line block ×4, first 2 shown]
	v_sub_f32_e32 v39, v42, v36
	v_sub_f32_e32 v36, v74, v81
	;; [unrolled: 1-line block ×6, first 2 shown]
	v_add_f32_e32 v47, v70, v38
	v_add_f32_e32 v48, v69, v50
	v_sub_f32_e32 v49, v70, v38
	v_sub_f32_e32 v50, v69, v50
	ds_write2_b64 v200, v[43:44], v[34:35] offset0:20 offset1:30
	ds_write2_b64 v200, v[47:48], v[36:37] offset0:40 offset1:50
	;; [unrolled: 1-line block ×4, first 2 shown]
	v_add_u32_e32 v34, 0xffffff9c, v183
	v_cndmask_b32_e32 v71, v34, v183, vcc
	v_mul_i32_i24_e32 v35, 0x48, v71
	v_mul_hi_i32_i24_e32 v34, 0x48, v71
	v_add_co_u32_e32 v35, vcc, s10, v35
	v_addc_co_u32_e32 v36, vcc, v33, v34, vcc
	s_waitcnt lgkmcnt(0)
	s_barrier
	global_load_dwordx4 v[48:51], v[35:36], off offset:720
	v_lshrrev_b16_e32 v34, 2, v32
	v_mul_u32_u24_e32 v34, 0x147b, v34
	v_lshrrev_b32_e32 v34, 17, v34
	v_mul_lo_u16_e32 v37, 0x64, v34
	v_sub_u16_e32 v32, v32, v37
	v_mul_lo_u16_e32 v37, 0x48, v32
	v_add_co_u32_e32 v39, vcc, s10, v37
	v_addc_co_u32_e32 v40, vcc, 0, v33, vcc
	global_load_dwordx4 v[76:79], v[39:40], off offset:720
	global_load_dwordx4 v[80:83], v[35:36], off offset:736
	global_load_dwordx4 v[64:67], v[39:40], off offset:736
	global_load_dwordx4 v[72:75], v[35:36], off offset:752
	global_load_dwordx4 v[52:55], v[39:40], off offset:752
	global_load_dwordx4 v[56:59], v[35:36], off offset:768
	global_load_dwordx4 v[60:63], v[39:40], off offset:768
	global_load_dwordx2 v[175:176], v[35:36], off offset:784
	global_load_dwordx2 v[173:174], v[39:40], off offset:784
	ds_read2_b64 v[35:38], v193 offset0:16 offset1:216
	ds_read2_b64 v[39:42], v192 offset0:32 offset1:232
	ds_read2_b64 v[101:104], v190 offset1:200
	ds_read2_b64 v[43:46], v191 offset0:48 offset1:248
	ds_read2_b64 v[105:108], v189 offset0:16 offset1:216
	;; [unrolled: 1-line block ×3, first 2 shown]
	s_movk_i32 s12, 0x63
	v_cmp_lt_u16_e32 vcc, s12, v183
	s_movk_i32 s12, 0x3e8
	v_mad_legacy_u16 v32, v34, s12, v32
	s_waitcnt vmcnt(9) lgkmcnt(5)
	v_mul_f32_e32 v90, v35, v49
	v_mul_f32_e32 v33, v36, v49
	v_fmac_f32_e32 v90, v36, v48
	s_waitcnt lgkmcnt(4)
	v_mul_f32_e32 v36, v40, v51
	v_fma_f32 v95, v39, v50, -v36
	v_mul_f32_e32 v93, v39, v51
	s_waitcnt vmcnt(7) lgkmcnt(3)
	v_mul_f32_e32 v39, v102, v83
	v_mul_f32_e32 v36, v42, v79
	s_waitcnt lgkmcnt(2)
	v_mul_f32_e32 v91, v43, v81
	v_fma_f32 v100, v101, v82, -v39
	s_waitcnt vmcnt(6)
	v_mul_f32_e32 v39, v104, v67
	v_fmac_f32_e32 v93, v40, v50
	v_fma_f32 v40, v41, v78, -v36
	v_mul_f32_e32 v36, v44, v81
	v_fmac_f32_e32 v91, v44, v80
	v_fma_f32 v44, v103, v66, -v39
	s_waitcnt vmcnt(5) lgkmcnt(1)
	v_mul_f32_e32 v39, v106, v73
	v_fma_f32 v89, v35, v48, -v33
	v_mul_f32_e32 v35, v37, v77
	v_fma_f32 v96, v105, v72, -v39
	s_waitcnt vmcnt(4)
	v_mul_f32_e32 v39, v108, v53
	v_mul_f32_e32 v33, v38, v77
	v_fmac_f32_e32 v35, v38, v76
	v_mul_f32_e32 v38, v41, v79
	v_fma_f32 v92, v43, v80, -v36
	v_mul_f32_e32 v36, v46, v65
	v_mul_f32_e32 v94, v105, v73
	v_fma_f32 v41, v107, v52, -v39
	v_mul_f32_e32 v39, v107, v53
	v_fma_f32 v33, v37, v76, -v33
	v_fmac_f32_e32 v38, v42, v78
	v_fma_f32 v37, v45, v64, -v36
	v_mul_f32_e32 v36, v45, v65
	v_mul_f32_e32 v97, v101, v83
	;; [unrolled: 1-line block ×3, first 2 shown]
	v_fmac_f32_e32 v94, v106, v72
	v_fmac_f32_e32 v39, v108, v52
	s_waitcnt lgkmcnt(0)
	v_mul_f32_e32 v43, v110, v75
	ds_read2_b64 v[105:108], v187 offset0:48 offset1:248
	v_fmac_f32_e32 v36, v46, v64
	v_fmac_f32_e32 v97, v102, v82
	;; [unrolled: 1-line block ×3, first 2 shown]
	v_fma_f32 v104, v109, v74, -v43
	v_mul_f32_e32 v102, v109, v75
	v_mul_f32_e32 v43, v112, v55
	;; [unrolled: 1-line block ×3, first 2 shown]
	v_fmac_f32_e32 v102, v110, v74
	v_fma_f32 v68, v111, v54, -v43
	v_fmac_f32_e32 v46, v112, v54
	ds_read2_b64 v[109:112], v186 offset1:200
	s_waitcnt vmcnt(3) lgkmcnt(1)
	v_mul_f32_e32 v43, v106, v57
	v_fma_f32 v101, v105, v56, -v43
	v_mul_f32_e32 v98, v105, v57
	s_waitcnt vmcnt(2)
	v_mul_f32_e32 v43, v108, v61
	v_fmac_f32_e32 v98, v106, v56
	v_fma_f32 v45, v107, v60, -v43
	v_mul_f32_e32 v43, v107, v61
	s_waitcnt lgkmcnt(0)
	v_mul_f32_e32 v47, v110, v59
	v_mul_f32_e32 v106, v109, v59
	v_fmac_f32_e32 v43, v108, v60
	v_fma_f32 v115, v109, v58, -v47
	v_fmac_f32_e32 v106, v110, v58
	ds_read2_b64 v[107:110], v194 offset0:16 offset1:216
	v_mul_f32_e32 v47, v112, v63
	v_fma_f32 v88, v111, v62, -v47
	v_sub_f32_e32 v99, v95, v100
	v_sub_f32_e32 v121, v94, v98
	s_waitcnt vmcnt(1) lgkmcnt(0)
	v_mul_f32_e32 v47, v108, v176
	v_fma_f32 v105, v107, v175, -v47
	v_mul_f32_e32 v103, v107, v176
	v_sub_f32_e32 v107, v115, v104
	v_fmac_f32_e32 v103, v108, v175
	v_add_f32_e32 v99, v99, v107
	v_sub_f32_e32 v107, v93, v97
	v_sub_f32_e32 v108, v106, v102
	v_add_f32_e32 v116, v107, v108
	v_sub_f32_e32 v107, v92, v96
	v_sub_f32_e32 v108, v105, v101
	;; [unrolled: 3-line block ×3, first 2 shown]
	v_add_f32_e32 v118, v107, v108
	v_add_f32_e32 v107, v96, v101
	;; [unrolled: 1-line block ×3, first 2 shown]
	v_fma_f32 v119, -0.5, v107, v89
	v_fma_f32 v122, -0.5, v108, v90
	v_sub_f32_e32 v120, v91, v103
	v_mov_b32_e32 v107, v119
	v_sub_f32_e32 v123, v92, v105
	v_mov_b32_e32 v108, v122
	v_fmac_f32_e32 v107, 0x3f737871, v120
	v_fmac_f32_e32 v108, 0xbf737871, v123
	v_sub_f32_e32 v169, v96, v101
	v_fmac_f32_e32 v107, 0x3f167918, v121
	v_fmac_f32_e32 v108, 0xbf167918, v169
	s_waitcnt vmcnt(0)
	v_mul_f32_e32 v47, v110, v174
	v_fmac_f32_e32 v107, 0x3e9e377a, v117
	v_fmac_f32_e32 v108, 0x3e9e377a, v118
	v_fma_f32 v69, v109, v173, -v47
	v_mul_f32_e32 v47, v109, v174
	v_mul_f32_e32 v170, 0x3f167918, v108
	v_mul_f32_e32 v171, 0xbf167918, v107
	v_fmac_f32_e32 v47, v110, v173
	v_fmac_f32_e32 v170, 0x3f4f1bbd, v107
	;; [unrolled: 1-line block ×3, first 2 shown]
	ds_read2_b64 v[107:110], v185 offset1:200
	v_mul_f32_e32 v70, v111, v63
	v_mov_b32_e32 v111, 0x3e8
	v_cndmask_b32_e32 v111, 0, v111, vcc
	v_add_lshl_u32 v206, v71, v111, 3
	s_waitcnt lgkmcnt(0)
	v_add_f32_e32 v71, v107, v95
	v_add_f32_e32 v71, v71, v100
	;; [unrolled: 1-line block ×3, first 2 shown]
	v_sub_f32_e32 v182, v95, v115
	v_sub_f32_e32 v198, v100, v104
	v_sub_f32_e32 v100, v100, v95
	v_add_f32_e32 v95, v95, v115
	v_add_f32_e32 v71, v71, v104
	v_fma_f32 v172, -0.5, v111, v107
	v_add_f32_e32 v111, v108, v93
	v_sub_f32_e32 v104, v104, v115
	v_fma_f32 v95, -0.5, v95, v107
	v_sub_f32_e32 v179, v97, v102
	v_add_f32_e32 v111, v111, v97
	v_add_f32_e32 v100, v100, v104
	v_mov_b32_e32 v104, v95
	v_sub_f32_e32 v177, v93, v106
	v_add_f32_e32 v111, v111, v102
	v_fmac_f32_e32 v104, 0xbf737871, v179
	v_fmac_f32_e32 v95, 0x3f737871, v179
	v_add_f32_e32 v180, v111, v106
	v_add_f32_e32 v111, v97, v102
	v_fmac_f32_e32 v104, 0x3f167918, v177
	v_fmac_f32_e32 v95, 0xbf167918, v177
	v_sub_f32_e32 v97, v97, v93
	v_add_f32_e32 v93, v93, v106
	v_fmac_f32_e32 v104, 0x3e9e377a, v100
	v_fmac_f32_e32 v95, 0x3e9e377a, v100
	v_sub_f32_e32 v100, v102, v106
	v_fma_f32 v93, -0.5, v93, v108
	v_add_f32_e32 v97, v97, v100
	v_mov_b32_e32 v100, v93
	v_fmac_f32_e32 v100, 0x3f737871, v198
	v_fmac_f32_e32 v93, 0xbf737871, v198
	;; [unrolled: 1-line block ×4, first 2 shown]
	v_fma_f32 v181, -0.5, v111, v108
	v_add_f32_e32 v111, v89, v92
	v_fmac_f32_e32 v100, 0x3e9e377a, v97
	v_fmac_f32_e32 v93, 0x3e9e377a, v97
	v_add_f32_e32 v97, v92, v105
	v_add_f32_e32 v111, v111, v96
	v_fmac_f32_e32 v89, -0.5, v97
	v_sub_f32_e32 v92, v96, v92
	v_sub_f32_e32 v96, v101, v105
	v_add_f32_e32 v92, v92, v96
	v_mov_b32_e32 v96, v89
	v_fmac_f32_e32 v96, 0xbf737871, v121
	v_fmac_f32_e32 v89, 0x3f737871, v121
	;; [unrolled: 1-line block ×4, first 2 shown]
	v_add_f32_e32 v111, v111, v101
	v_fmac_f32_e32 v96, 0x3e9e377a, v92
	v_fmac_f32_e32 v89, 0x3e9e377a, v92
	v_add_f32_e32 v92, v91, v103
	v_add_f32_e32 v201, v111, v105
	;; [unrolled: 1-line block ×3, first 2 shown]
	v_fmac_f32_e32 v90, -0.5, v92
	v_sub_f32_e32 v91, v94, v91
	v_sub_f32_e32 v92, v98, v103
	v_add_f32_e32 v91, v91, v92
	v_mov_b32_e32 v92, v90
	v_fmac_f32_e32 v92, 0x3f737871, v169
	v_fmac_f32_e32 v92, 0xbf167918, v123
	;; [unrolled: 1-line block ×5, first 2 shown]
	v_add_f32_e32 v111, v111, v94
	v_fmac_f32_e32 v90, 0x3e9e377a, v91
	v_mul_f32_e32 v94, 0x3f737871, v92
	v_mov_b32_e32 v178, v172
	v_add_f32_e32 v111, v111, v98
	v_fmac_f32_e32 v94, 0x3e9e377a, v96
	v_mul_f32_e32 v96, 0xbf737871, v96
	v_mul_f32_e32 v97, 0xbe9e377a, v89
	;; [unrolled: 1-line block ×3, first 2 shown]
	v_fmac_f32_e32 v119, 0xbf737871, v120
	v_fmac_f32_e32 v122, 0x3f737871, v123
	;; [unrolled: 1-line block ×9, first 2 shown]
	v_add_f32_e32 v71, v71, v115
	v_fmac_f32_e32 v178, 0x3f167918, v179
	v_mov_b32_e32 v197, v181
	v_add_f32_e32 v89, v104, v94
	v_add_f32_e32 v90, v100, v96
	;; [unrolled: 1-line block ×4, first 2 shown]
	v_add_u32_e32 v207, 0x400, v206
	v_fmac_f32_e32 v172, 0xbf167918, v179
	v_fmac_f32_e32 v181, 0x3f737871, v182
	;; [unrolled: 1-line block ×5, first 2 shown]
	v_add_f32_e32 v202, v111, v103
	v_add_f32_e32 v111, v71, v201
	s_barrier
	ds_write2_b64 v207, v[89:90], v[91:92] offset0:72 offset1:172
	v_sub_f32_e32 v89, v71, v201
	v_fmac_f32_e32 v172, 0x3e9e377a, v99
	v_fmac_f32_e32 v181, 0x3f167918, v198
	v_mul_f32_e32 v71, 0xbf4f1bbd, v119
	v_mul_f32_e32 v99, 0xbf4f1bbd, v122
	v_add_f32_e32 v34, v109, v40
	v_fmac_f32_e32 v181, 0x3e9e377a, v116
	v_fmac_f32_e32 v71, 0x3f167918, v122
	v_fmac_f32_e32 v99, 0xbf167918, v119
	v_add_f32_e32 v34, v34, v44
	v_sub_f32_e32 v90, v180, v202
	v_add_f32_e32 v91, v172, v71
	v_add_f32_e32 v92, v181, v99
	v_add_u32_e32 v208, 0x800, v206
	v_add_f32_e32 v34, v34, v68
	v_fmac_f32_e32 v197, 0xbf737871, v182
	ds_write2_b64 v208, v[91:92], v[89:90] offset0:144 offset1:244
	v_sub_f32_e32 v91, v104, v94
	v_add_f32_e32 v104, v34, v88
	v_add_f32_e32 v34, v44, v68
	v_fmac_f32_e32 v197, 0xbf167918, v198
	v_fma_f32 v105, -0.5, v34, v109
	v_add_f32_e32 v34, v110, v38
	v_fmac_f32_e32 v197, 0x3e9e377a, v116
	v_add_f32_e32 v34, v34, v42
	v_fmac_f32_e32 v70, v112, v62
	v_add_f32_e32 v112, v180, v202
	v_add_f32_e32 v113, v178, v170
	;; [unrolled: 1-line block ×4, first 2 shown]
	ds_write2_b64 v206, v[111:112], v[113:114] offset1:100
	v_add_f32_e32 v111, v34, v70
	v_add_f32_e32 v34, v42, v46
	v_fma_f32 v112, -0.5, v34, v110
	v_add_f32_e32 v34, v33, v37
	v_add_f32_e32 v34, v34, v41
	;; [unrolled: 1-line block ×6, first 2 shown]
	v_sub_f32_e32 v89, v178, v170
	v_sub_f32_e32 v90, v197, v171
	;; [unrolled: 1-line block ×3, first 2 shown]
	v_add_u32_e32 v203, 0x1000, v206
	v_add_f32_e32 v34, v34, v43
	ds_write2_b64 v203, v[89:90], v[91:92] offset0:88 offset1:188
	v_sub_f32_e32 v91, v172, v71
	v_sub_f32_e32 v71, v40, v44
	;; [unrolled: 1-line block ×3, first 2 shown]
	v_add_f32_e32 v117, v34, v47
	v_lshlrev_b32_e32 v198, 3, v32
	v_sub_f32_e32 v32, v44, v40
	v_add_f32_e32 v34, v40, v88
	v_sub_f32_e32 v40, v68, v88
	v_add_f32_e32 v32, v32, v40
	v_fma_f32 v40, -0.5, v34, v109
	v_sub_f32_e32 v108, v42, v46
	v_sub_f32_e32 v115, v44, v68
	v_mov_b32_e32 v44, v40
	v_sub_f32_e32 v106, v38, v70
	v_fmac_f32_e32 v44, 0xbf737871, v108
	v_fmac_f32_e32 v40, 0x3f737871, v108
	;; [unrolled: 1-line block ×4, first 2 shown]
	v_sub_f32_e32 v89, v95, v97
	v_sub_f32_e32 v90, v93, v98
	;; [unrolled: 1-line block ×3, first 2 shown]
	v_add_u32_e32 v197, 0x1800, v206
	v_fmac_f32_e32 v44, 0x3e9e377a, v32
	v_fmac_f32_e32 v40, 0x3e9e377a, v32
	v_add_f32_e32 v32, v38, v70
	ds_write2_b64 v197, v[89:90], v[91:92] offset0:32 offset1:132
	v_sub_f32_e32 v89, v88, v68
	v_fmac_f32_e32 v110, -0.5, v32
	v_add_f32_e32 v71, v71, v89
	v_sub_f32_e32 v89, v38, v42
	v_sub_f32_e32 v90, v70, v46
	;; [unrolled: 1-line block ×3, first 2 shown]
	v_mov_b32_e32 v38, v110
	v_add_f32_e32 v93, v89, v90
	v_sub_f32_e32 v89, v37, v41
	v_sub_f32_e32 v90, v69, v45
	;; [unrolled: 1-line block ×3, first 2 shown]
	v_fmac_f32_e32 v38, 0x3f737871, v115
	v_fmac_f32_e32 v110, 0xbf737871, v115
	v_add_f32_e32 v94, v89, v90
	v_sub_f32_e32 v89, v36, v39
	v_sub_f32_e32 v90, v47, v43
	v_add_f32_e32 v32, v32, v34
	v_fmac_f32_e32 v38, 0xbf167918, v113
	v_fmac_f32_e32 v110, 0x3f167918, v113
	v_add_f32_e32 v95, v89, v90
	v_add_f32_e32 v89, v41, v45
	v_fmac_f32_e32 v38, 0x3e9e377a, v32
	v_fmac_f32_e32 v110, 0x3e9e377a, v32
	v_add_f32_e32 v32, v37, v69
	v_fma_f32 v96, -0.5, v89, v33
	v_fmac_f32_e32 v33, -0.5, v32
	v_sub_f32_e32 v32, v41, v37
	v_sub_f32_e32 v34, v45, v69
	;; [unrolled: 1-line block ×3, first 2 shown]
	v_add_f32_e32 v32, v32, v34
	v_mov_b32_e32 v34, v33
	v_sub_f32_e32 v97, v36, v47
	v_fmac_f32_e32 v34, 0xbf737871, v98
	v_fmac_f32_e32 v33, 0x3f737871, v98
	v_add_f32_e32 v90, v39, v43
	v_fmac_f32_e32 v34, 0x3f167918, v97
	v_fmac_f32_e32 v33, 0xbf167918, v97
	v_fma_f32 v99, -0.5, v90, v35
	v_fmac_f32_e32 v34, 0x3e9e377a, v32
	v_fmac_f32_e32 v33, 0x3e9e377a, v32
	v_add_f32_e32 v32, v36, v47
	v_mov_b32_e32 v89, v96
	v_sub_f32_e32 v100, v37, v69
	v_mov_b32_e32 v90, v99
	v_fmac_f32_e32 v35, -0.5, v32
	v_sub_f32_e32 v32, v39, v36
	v_sub_f32_e32 v36, v43, v47
	v_fmac_f32_e32 v89, 0x3f737871, v97
	v_fmac_f32_e32 v90, 0xbf737871, v100
	v_sub_f32_e32 v101, v41, v45
	v_add_f32_e32 v32, v32, v36
	v_mov_b32_e32 v36, v35
	v_fmac_f32_e32 v89, 0x3f167918, v98
	v_fmac_f32_e32 v90, 0xbf167918, v101
	v_mov_b32_e32 v107, v105
	v_mov_b32_e32 v114, v112
	v_fmac_f32_e32 v36, 0x3f737871, v101
	v_fmac_f32_e32 v35, 0xbf737871, v101
	;; [unrolled: 1-line block ×10, first 2 shown]
	v_mul_f32_e32 v102, 0x3f167918, v90
	v_mul_f32_e32 v103, 0xbf167918, v89
	v_fmac_f32_e32 v107, 0x3f167918, v108
	v_fmac_f32_e32 v114, 0xbf167918, v115
	;; [unrolled: 1-line block ×4, first 2 shown]
	v_mul_f32_e32 v39, 0xbf737871, v34
	v_fmac_f32_e32 v96, 0xbf167918, v98
	v_fmac_f32_e32 v99, 0x3f167918, v101
	;; [unrolled: 1-line block ×6, first 2 shown]
	v_mul_f32_e32 v37, 0x3f737871, v36
	v_fmac_f32_e32 v39, 0x3e9e377a, v36
	v_mul_f32_e32 v36, 0xbe9e377a, v33
	v_mul_f32_e32 v41, 0xbe9e377a, v35
	v_fmac_f32_e32 v105, 0xbf737871, v106
	v_fmac_f32_e32 v112, 0x3f737871, v113
	;; [unrolled: 1-line block ×4, first 2 shown]
	v_add_f32_e32 v89, v104, v116
	v_add_f32_e32 v90, v111, v117
	;; [unrolled: 1-line block ×4, first 2 shown]
	v_fmac_f32_e32 v37, 0x3e9e377a, v34
	v_fmac_f32_e32 v36, 0x3f737871, v35
	;; [unrolled: 1-line block ×5, first 2 shown]
	v_mul_f32_e32 v42, 0xbf4f1bbd, v96
	v_mul_f32_e32 v43, 0xbf4f1bbd, v99
	ds_write2_b64 v198, v[89:90], v[91:92] offset1:100
	v_add_f32_e32 v32, v44, v37
	v_add_f32_e32 v33, v38, v39
	;; [unrolled: 1-line block ×4, first 2 shown]
	v_add_u32_e32 v201, 0x400, v198
	v_fmac_f32_e32 v105, 0x3e9e377a, v71
	v_fmac_f32_e32 v112, 0x3e9e377a, v93
	;; [unrolled: 1-line block ×4, first 2 shown]
	v_mad_u64_u32 v[88:89], s[10:11], v183, 24, s[10:11]
	ds_write2_b64 v201, v[32:33], v[34:35] offset0:72 offset1:172
	v_sub_f32_e32 v32, v104, v116
	v_sub_f32_e32 v33, v111, v117
	v_add_f32_e32 v34, v105, v42
	v_add_f32_e32 v35, v112, v43
	v_add_u32_e32 v202, 0x800, v198
	ds_write2_b64 v202, v[34:35], v[32:33] offset0:144 offset1:244
	v_sub_f32_e32 v32, v107, v102
	v_sub_f32_e32 v33, v114, v103
	;; [unrolled: 1-line block ×4, first 2 shown]
	v_add_u32_e32 v204, 0x1000, v198
	ds_write2_b64 v204, v[32:33], v[34:35] offset0:88 offset1:188
	v_sub_f32_e32 v33, v110, v41
	v_sub_f32_e32 v32, v40, v36
	;; [unrolled: 1-line block ×4, first 2 shown]
	v_add_u32_e32 v205, 0x1800, v198
	ds_write2_b64 v205, v[32:33], v[34:35] offset0:32 offset1:132
	v_add_co_u32_e32 v32, vcc, s6, v88
	v_addc_co_u32_e32 v33, vcc, 0, v89, vcc
	s_waitcnt lgkmcnt(0)
	s_barrier
	global_load_dwordx4 v[32:35], v[32:33], off offset:3824
	v_add_co_u32_e32 v36, vcc, s7, v88
	v_addc_co_u32_e32 v37, vcc, 0, v89, vcc
	global_load_dwordx4 v[36:39], v[36:37], off offset:432
	v_add_co_u32_e32 v40, vcc, s14, v88
	v_addc_co_u32_e32 v41, vcc, 0, v89, vcc
	s_movk_i32 s6, 0x31b0
	v_add_co_u32_e32 v44, vcc, s6, v88
	global_load_dwordx4 v[40:43], v[40:41], off offset:1136
	v_addc_co_u32_e32 v45, vcc, 0, v89, vcc
	global_load_dwordx2 v[171:172], v[44:45], off offset:16
	s_movk_i32 s6, 0x4470
	v_add_co_u32_e32 v44, vcc, s6, v88
	v_addc_co_u32_e32 v45, vcc, 0, v89, vcc
	global_load_dwordx2 v[169:170], v[44:45], off offset:16
	v_add_co_u32_e32 v44, vcc, s9, v88
	v_addc_co_u32_e32 v45, vcc, 0, v89, vcc
	global_load_dwordx4 v[44:47], v[44:45], off offset:1840
	v_add_co_u32_e32 v68, vcc, s8, v88
	v_addc_co_u32_e32 v69, vcc, 0, v89, vcc
	global_load_dwordx4 v[68:71], v[68:69], off offset:2544
	s_movk_i32 s6, 0x1ef0
	v_add_co_u32_e32 v90, vcc, s6, v88
	v_addc_co_u32_e32 v91, vcc, 0, v89, vcc
	global_load_dwordx2 v[181:182], v[90:91], off offset:16
	s_movk_i32 s6, 0x5730
	v_add_co_u32_e32 v90, vcc, s6, v88
	v_addc_co_u32_e32 v91, vcc, 0, v89, vcc
	s_movk_i32 s6, 0x69f0
	v_add_co_u32_e32 v88, vcc, s6, v88
	global_load_dwordx2 v[179:180], v[90:91], off offset:16
	v_addc_co_u32_e32 v89, vcc, 0, v89, vcc
	global_load_dwordx2 v[177:178], v[88:89], off offset:16
	ds_read2_b64 v[88:91], v189 offset0:16 offset1:216
	s_movk_i32 s6, 0x7d00
	s_waitcnt vmcnt(9) lgkmcnt(0)
	v_mul_f32_e32 v92, v89, v35
	v_fma_f32 v96, v88, v34, -v92
	ds_read2_b64 v[92:95], v191 offset0:48 offset1:248
	v_mul_f32_e32 v97, v88, v35
	v_fmac_f32_e32 v97, v89, v34
	s_waitcnt vmcnt(8)
	v_mul_f32_e32 v88, v91, v39
	v_fma_f32 v98, v90, v38, -v88
	v_mul_f32_e32 v99, v90, v39
	s_waitcnt lgkmcnt(0)
	v_mul_f32_e32 v88, v93, v37
	v_fmac_f32_e32 v99, v91, v38
	v_fma_f32 v100, v92, v36, -v88
	ds_read2_b64 v[88:91], v186 offset1:200
	v_mul_f32_e32 v101, v92, v37
	s_waitcnt vmcnt(7)
	v_mul_f32_e32 v92, v95, v41
	v_fma_f32 v102, v94, v40, -v92
	v_mul_f32_e32 v103, v94, v41
	s_waitcnt vmcnt(6) lgkmcnt(0)
	v_mul_f32_e32 v92, v89, v172
	v_fmac_f32_e32 v101, v93, v36
	v_fmac_f32_e32 v103, v95, v40
	v_fma_f32 v104, v88, v171, -v92
	ds_read2_b64 v[92:95], v188 offset0:32 offset1:232
	v_mul_f32_e32 v105, v88, v172
	s_waitcnt vmcnt(5)
	v_mul_f32_e32 v88, v91, v170
	v_fma_f32 v106, v90, v169, -v88
	v_mul_f32_e32 v107, v90, v170
	s_waitcnt lgkmcnt(0)
	v_mul_f32_e32 v88, v93, v43
	v_fmac_f32_e32 v105, v89, v171
	v_fmac_f32_e32 v107, v91, v169
	v_fma_f32 v108, v92, v42, -v88
	ds_read2_b64 v[88:91], v190 offset1:200
	v_mul_f32_e32 v109, v92, v43
	s_waitcnt vmcnt(4)
	v_mul_f32_e32 v92, v95, v47
	v_fma_f32 v110, v94, v46, -v92
	v_mul_f32_e32 v111, v94, v47
	s_waitcnt lgkmcnt(0)
	v_mul_f32_e32 v92, v89, v45
	v_fmac_f32_e32 v109, v93, v42
	v_fmac_f32_e32 v111, v95, v46
	v_fma_f32 v112, v88, v44, -v92
	ds_read2_b64 v[92:95], v187 offset0:48 offset1:248
	v_mul_f32_e32 v113, v88, v45
	s_waitcnt vmcnt(3)
	v_mul_f32_e32 v88, v91, v69
	v_fma_f32 v114, v90, v68, -v88
	v_mul_f32_e32 v115, v90, v69
	s_waitcnt vmcnt(2) lgkmcnt(0)
	v_mul_f32_e32 v88, v95, v182
	v_fmac_f32_e32 v113, v89, v44
	v_fmac_f32_e32 v115, v91, v68
	v_fma_f32 v116, v94, v181, -v88
	ds_read2_b64 v[88:91], v194 offset0:16 offset1:216
	v_mul_f32_e32 v117, v94, v182
	v_mul_f32_e32 v94, v93, v71
	v_fma_f32 v118, v92, v70, -v94
	v_mul_f32_e32 v119, v92, v71
	s_waitcnt vmcnt(1) lgkmcnt(0)
	v_mul_f32_e32 v92, v89, v180
	v_fmac_f32_e32 v117, v95, v181
	v_fmac_f32_e32 v119, v93, v70
	v_fma_f32 v120, v88, v179, -v92
	v_mul_f32_e32 v121, v88, v180
	ds_read2_b64 v[92:95], v185 offset1:200
	s_waitcnt vmcnt(0)
	v_mul_f32_e32 v88, v91, v178
	v_mul_f32_e32 v123, v90, v178
	v_fmac_f32_e32 v121, v89, v179
	v_fma_f32 v122, v90, v177, -v88
	v_fmac_f32_e32 v123, v91, v177
	ds_read2_b64 v[88:91], v192 offset0:32 offset1:232
	s_waitcnt lgkmcnt(1)
	v_sub_f32_e32 v96, v92, v96
	v_sub_f32_e32 v209, v94, v98
	v_fma_f32 v98, v92, 2.0, -v96
	v_sub_f32_e32 v97, v93, v97
	s_waitcnt lgkmcnt(0)
	v_mul_f32_e32 v92, v91, v33
	v_mul_f32_e32 v214, v90, v33
	v_fma_f32 v213, v90, v32, -v92
	v_fmac_f32_e32 v214, v91, v32
	v_sub_f32_e32 v210, v95, v99
	v_sub_f32_e32 v116, v213, v116
	v_sub_f32_e32 v117, v214, v117
	v_fma_f32 v211, v94, 2.0, -v209
	v_fma_f32 v212, v95, 2.0, -v210
	v_sub_f32_e32 v94, v96, v117
	v_add_f32_e32 v95, v97, v116
	v_fma_f32 v99, v93, 2.0, -v97
	v_fma_f32 v96, v96, 2.0, -v94
	;; [unrolled: 1-line block ×3, first 2 shown]
	ds_read2_b64 v[90:93], v193 offset0:16 offset1:216
	ds_write_b64 v185, v[96:97] offset:8000
	v_fma_f32 v96, v213, 2.0, -v116
	v_fma_f32 v97, v214, 2.0, -v117
	v_sub_f32_e32 v96, v98, v96
	v_sub_f32_e32 v97, v99, v97
	;; [unrolled: 1-line block ×4, first 2 shown]
	ds_write_b64 v185, v[96:97] offset:16000
	ds_write_b64 v185, v[94:95] offset:24000
	v_fma_f32 v94, v100, 2.0, -v104
	v_fma_f32 v95, v101, 2.0, -v105
	v_sub_f32_e32 v94, v211, v94
	v_sub_f32_e32 v95, v212, v95
	v_fma_f32 v98, v98, 2.0, -v96
	v_fma_f32 v99, v99, 2.0, -v97
	;; [unrolled: 1-line block ×4, first 2 shown]
	ds_write2_b64 v185, v[98:99], v[96:97] offset1:200
	ds_write_b64 v185, v[94:95] offset:17600
	v_sub_f32_e32 v94, v209, v105
	v_add_f32_e32 v95, v210, v104
	s_waitcnt lgkmcnt(5)
	v_sub_f32_e32 v100, v90, v108
	v_sub_f32_e32 v101, v91, v109
	;; [unrolled: 1-line block ×4, first 2 shown]
	v_fma_f32 v96, v209, 2.0, -v94
	v_fma_f32 v97, v210, 2.0, -v95
	ds_write_b64 v185, v[94:95] offset:25600
	v_sub_f32_e32 v94, v100, v105
	v_add_f32_e32 v95, v101, v104
	v_fma_f32 v98, v100, 2.0, -v94
	v_fma_f32 v99, v101, 2.0, -v95
	ds_write2_b64 v191, v[96:97], v[98:99] offset0:48 offset1:248
	v_fma_f32 v96, v90, 2.0, -v100
	v_fma_f32 v97, v91, 2.0, -v101
	;; [unrolled: 1-line block ×4, first 2 shown]
	v_sub_f32_e32 v100, v92, v110
	v_sub_f32_e32 v101, v93, v111
	;; [unrolled: 1-line block ×6, first 2 shown]
	v_fma_f32 v98, v92, 2.0, -v100
	v_fma_f32 v99, v93, 2.0, -v101
	v_fma_f32 v92, v96, 2.0, -v90
	v_fma_f32 v93, v97, 2.0, -v91
	v_fma_f32 v96, v112, 2.0, -v102
	v_fma_f32 v97, v113, 2.0, -v103
	v_sub_f32_e32 v96, v98, v96
	v_sub_f32_e32 v97, v99, v97
	v_fma_f32 v98, v98, 2.0, -v96
	v_fma_f32 v99, v99, 2.0, -v97
	ds_write2_b64 v193, v[92:93], v[98:99] offset0:16 offset1:216
	ds_write2_b64 v188, v[90:91], v[96:97] offset0:32 offset1:232
	v_sub_f32_e32 v90, v100, v103
	v_add_f32_e32 v91, v101, v102
	v_add_u32_e32 v209, 0x6a00, v185
	v_sub_f32_e32 v92, v88, v118
	v_sub_f32_e32 v93, v89, v119
	;; [unrolled: 1-line block ×4, first 2 shown]
	ds_write2_b64 v209, v[94:95], v[90:91] offset0:8 offset1:208
	v_fma_f32 v94, v88, 2.0, -v92
	v_fma_f32 v95, v89, 2.0, -v93
	v_sub_f32_e32 v88, v92, v97
	v_add_f32_e32 v89, v93, v96
	v_fma_f32 v90, v100, 2.0, -v90
	v_fma_f32 v91, v101, 2.0, -v91
	;; [unrolled: 1-line block ×4, first 2 shown]
	ds_write2_b64 v190, v[90:91], v[92:93] offset1:200
	v_fma_f32 v90, v114, 2.0, -v96
	v_fma_f32 v91, v115, 2.0, -v97
	v_sub_f32_e32 v90, v94, v90
	v_sub_f32_e32 v91, v95, v91
	v_fma_f32 v92, v94, 2.0, -v90
	v_fma_f32 v93, v95, 2.0, -v91
	ds_write_b64 v185, v[92:93] offset:6400
	ds_write_b64 v185, v[90:91] offset:22400
	;; [unrolled: 1-line block ×3, first 2 shown]
	s_waitcnt lgkmcnt(0)
	s_barrier
	global_load_dwordx2 v[84:85], v[84:85], off offset:3328
	v_add_co_u32_e32 v88, vcc, s6, v86
	v_addc_co_u32_e32 v89, vcc, 0, v87, vcc
	global_load_dwordx2 v[92:93], v[88:89], off offset:1600
	global_load_dwordx2 v[94:95], v[88:89], off offset:3200
	s_mov_b32 s6, 0x8000
	v_add_co_u32_e32 v88, vcc, s6, v86
	v_addc_co_u32_e32 v89, vcc, 0, v87, vcc
	s_mov_b32 s6, 0x9000
	global_load_dwordx2 v[96:97], v[88:89], off offset:4032
	v_add_co_u32_e32 v88, vcc, s6, v86
	v_addc_co_u32_e32 v89, vcc, 0, v87, vcc
	global_load_dwordx2 v[98:99], v[88:89], off offset:1536
	global_load_dwordx2 v[100:101], v[88:89], off offset:3136
	s_mov_b32 s6, 0xa000
	v_add_co_u32_e32 v88, vcc, s6, v86
	v_addc_co_u32_e32 v89, vcc, 0, v87, vcc
	global_load_dwordx2 v[102:103], v[88:89], off offset:640
	global_load_dwordx2 v[104:105], v[88:89], off offset:2240
	;; [unrolled: 1-line block ×3, first 2 shown]
	s_mov_b32 s6, 0xb000
	v_add_co_u32_e32 v88, vcc, s6, v86
	v_addc_co_u32_e32 v89, vcc, 0, v87, vcc
	global_load_dwordx2 v[108:109], v[88:89], off offset:1344
	global_load_dwordx2 v[110:111], v[88:89], off offset:2944
	s_mov_b32 s6, 0xc000
	v_add_co_u32_e32 v112, vcc, s6, v86
	v_addc_co_u32_e32 v113, vcc, 0, v87, vcc
	global_load_dwordx2 v[114:115], v[112:113], off offset:448
	global_load_dwordx2 v[116:117], v[112:113], off offset:2048
	s_mov_b32 s6, 0xd000
	v_add_co_u32_e32 v118, vcc, s6, v86
	global_load_dwordx2 v[112:113], v[112:113], off offset:3648
	v_addc_co_u32_e32 v119, vcc, 0, v87, vcc
	global_load_dwordx2 v[120:121], v[118:119], off offset:1152
	s_mov_b32 s6, 0xe000
	v_add_co_u32_e32 v210, vcc, s6, v86
	v_addc_co_u32_e32 v211, vcc, 0, v87, vcc
	global_load_dwordx2 v[212:213], v[210:211], off offset:256
	ds_read2_b64 v[88:91], v185 offset1:200
	global_load_dwordx2 v[118:119], v[118:119], off offset:2752
	s_mov_b32 s6, 0xf000
	global_load_dwordx2 v[214:215], v[210:211], off offset:1856
	s_waitcnt vmcnt(17) lgkmcnt(0)
	v_mul_f32_e32 v122, v89, v85
	v_mul_f32_e32 v123, v88, v85
	v_add_co_u32_e32 v85, vcc, s6, v86
	v_addc_co_u32_e32 v86, vcc, 0, v87, vcc
	global_load_dwordx2 v[216:217], v[85:86], off offset:960
	s_nop 0
	global_load_dwordx2 v[210:211], v[210:211], off offset:3456
	v_fma_f32 v122, v88, v84, -v122
	v_fmac_f32_e32 v123, v89, v84
	ds_write_b64 v185, v[122:123]
	ds_read2_b64 v[84:87], v193 offset0:16 offset1:216
	s_waitcnt vmcnt(18)
	v_mul_f32_e32 v88, v91, v93
	v_fma_f32 v122, v90, v92, -v88
	v_mul_f32_e32 v123, v90, v93
	v_fmac_f32_e32 v123, v91, v92
	s_waitcnt vmcnt(17) lgkmcnt(0)
	v_mul_f32_e32 v88, v85, v95
	v_fma_f32 v92, v84, v94, -v88
	ds_read2_b64 v[88:91], v192 offset0:32 offset1:232
	v_mul_f32_e32 v93, v84, v95
	s_waitcnt vmcnt(16)
	v_mul_f32_e32 v84, v87, v97
	v_fmac_f32_e32 v93, v85, v94
	v_fma_f32 v94, v86, v96, -v84
	v_mul_f32_e32 v95, v86, v97
	s_waitcnt vmcnt(15) lgkmcnt(0)
	v_mul_f32_e32 v84, v89, v99
	v_fmac_f32_e32 v95, v87, v96
	v_fma_f32 v96, v88, v98, -v84
	ds_read2_b64 v[84:87], v191 offset0:48 offset1:248
	v_mul_f32_e32 v97, v88, v99
	s_waitcnt vmcnt(14)
	v_mul_f32_e32 v88, v91, v101
	v_fmac_f32_e32 v97, v89, v98
	v_fma_f32 v98, v90, v100, -v88
	v_mul_f32_e32 v99, v90, v101
	s_waitcnt vmcnt(13) lgkmcnt(0)
	v_mul_f32_e32 v88, v85, v103
	v_fmac_f32_e32 v99, v91, v100
	v_fma_f32 v100, v84, v102, -v88
	ds_read2_b64 v[88:91], v190 offset1:200
	v_mul_f32_e32 v101, v84, v103
	s_waitcnt vmcnt(12)
	v_mul_f32_e32 v84, v87, v105
	v_fmac_f32_e32 v101, v85, v102
	v_fma_f32 v102, v86, v104, -v84
	v_mul_f32_e32 v103, v86, v105
	s_waitcnt vmcnt(11) lgkmcnt(0)
	v_mul_f32_e32 v84, v89, v107
	v_fmac_f32_e32 v103, v87, v104
	v_fma_f32 v104, v88, v106, -v84
	ds_read2_b64 v[84:87], v189 offset0:16 offset1:216
	v_mul_f32_e32 v105, v88, v107
	s_waitcnt vmcnt(10)
	v_mul_f32_e32 v88, v91, v109
	v_fmac_f32_e32 v105, v89, v106
	v_fma_f32 v106, v90, v108, -v88
	v_mul_f32_e32 v107, v90, v109
	s_waitcnt vmcnt(9) lgkmcnt(0)
	v_mul_f32_e32 v88, v85, v111
	v_fmac_f32_e32 v107, v91, v108
	v_fma_f32 v108, v84, v110, -v88
	ds_read2_b64 v[88:91], v188 offset0:32 offset1:232
	;; [unrolled: 11-line block ×3, first 2 shown]
	v_mul_f32_e32 v115, v88, v117
	s_waitcnt vmcnt(6)
	v_mul_f32_e32 v88, v91, v113
	v_fmac_f32_e32 v115, v89, v116
	v_fma_f32 v116, v90, v112, -v88
	v_mul_f32_e32 v117, v90, v113
	s_waitcnt vmcnt(5) lgkmcnt(0)
	v_mul_f32_e32 v88, v85, v121
	v_fmac_f32_e32 v117, v91, v112
	v_fma_f32 v112, v84, v120, -v88
	ds_read2_b64 v[88:91], v186 offset1:200
	v_mul_f32_e32 v113, v84, v121
	s_waitcnt vmcnt(3)
	v_mul_f32_e32 v84, v87, v119
	v_fmac_f32_e32 v113, v85, v120
	v_fma_f32 v120, v86, v118, -v84
	v_mul_f32_e32 v121, v86, v119
	s_waitcnt lgkmcnt(0)
	v_mul_f32_e32 v84, v89, v213
	v_fmac_f32_e32 v121, v87, v118
	v_fma_f32 v118, v88, v212, -v84
	ds_read2_b64 v[84:87], v194 offset0:16 offset1:216
	v_mul_f32_e32 v119, v88, v213
	s_waitcnt vmcnt(2)
	v_mul_f32_e32 v88, v91, v215
	v_fmac_f32_e32 v119, v89, v212
	v_fma_f32 v88, v90, v214, -v88
	v_mul_f32_e32 v89, v90, v215
	s_waitcnt vmcnt(0) lgkmcnt(0)
	v_mul_f32_e32 v90, v85, v211
	v_fmac_f32_e32 v89, v91, v214
	v_fma_f32 v90, v84, v210, -v90
	v_mul_f32_e32 v91, v84, v211
	v_mul_f32_e32 v84, v87, v217
	v_fmac_f32_e32 v91, v85, v210
	v_fma_f32 v84, v86, v216, -v84
	v_mul_f32_e32 v85, v86, v217
	v_add_u32_e32 v86, 0x600, v185
	ds_write2_b64 v86, v[122:123], v[92:93] offset0:8 offset1:208
	v_add_u32_e32 v86, 0x1200, v185
	ds_write2_b64 v86, v[94:95], v[96:97] offset0:24 offset1:224
	;; [unrolled: 2-line block ×6, first 2 shown]
	v_add_u32_e32 v86, 0x5000, v185
	v_fmac_f32_e32 v85, v87, v216
	ds_write2_b64 v86, v[116:117], v[112:113] offset0:40 offset1:240
	v_add_u32_e32 v86, 0x5d00, v185
	ds_write2_b64 v86, v[120:121], v[118:119] offset0:24 offset1:224
	ds_write2_b64 v209, v[88:89], v[90:91] offset0:8 offset1:208
	ds_write_b64 v185, v[84:85] offset:30400
	s_waitcnt lgkmcnt(0)
	s_barrier
	ds_read2_b64 v[84:87], v192 offset0:32 offset1:232
	ds_read2_b64 v[88:91], v190 offset1:200
	ds_read2_b64 v[96:99], v188 offset0:32 offset1:232
	ds_read2_b64 v[92:95], v186 offset1:200
	s_waitcnt lgkmcnt(2)
	v_sub_f32_e32 v100, v84, v88
	v_sub_f32_e32 v108, v85, v89
	s_waitcnt lgkmcnt(0)
	v_sub_f32_e32 v101, v92, v96
	v_add_f32_e32 v210, v100, v101
	ds_read2_b64 v[100:103], v191 offset0:48 offset1:248
	ds_read2_b64 v[104:107], v189 offset0:16 offset1:216
	;; [unrolled: 1-line block ×5, first 2 shown]
	v_sub_f32_e32 v109, v93, v97
	v_add_f32_e32 v215, v108, v109
	s_waitcnt lgkmcnt(3)
	v_sub_f32_e32 v108, v100, v104
	s_waitcnt lgkmcnt(1)
	v_sub_f32_e32 v109, v112, v116
	v_add_f32_e32 v216, v108, v109
	v_sub_f32_e32 v108, v101, v105
	v_sub_f32_e32 v109, v113, v117
	v_add_f32_e32 v217, v108, v109
	v_add_f32_e32 v108, v104, v116
	s_waitcnt lgkmcnt(0)
	v_fma_f32 v218, -0.5, v108, v120
	v_add_f32_e32 v108, v105, v117
	v_fma_f32 v221, -0.5, v108, v121
	v_sub_f32_e32 v222, v100, v112
	v_mov_b32_e32 v212, v221
	ds_read2_b64 v[108:111], v185 offset1:200
	v_sub_f32_e32 v219, v101, v113
	v_mov_b32_e32 v211, v218
	v_fmac_f32_e32 v212, 0x3f737871, v222
	v_sub_f32_e32 v223, v104, v116
	v_fmac_f32_e32 v211, 0xbf737871, v219
	v_sub_f32_e32 v220, v105, v117
	v_fmac_f32_e32 v212, 0x3f167918, v223
	v_fmac_f32_e32 v211, 0xbf167918, v220
	;; [unrolled: 1-line block ×4, first 2 shown]
	v_mul_f32_e32 v224, 0xbf167918, v212
	v_fmac_f32_e32 v224, 0x3f4f1bbd, v211
	v_mul_f32_e32 v225, 0x3f167918, v211
	s_waitcnt lgkmcnt(0)
	v_add_f32_e32 v211, v108, v84
	v_add_f32_e32 v211, v211, v88
	;; [unrolled: 1-line block ×5, first 2 shown]
	v_sub_f32_e32 v233, v84, v92
	v_sub_f32_e32 v235, v88, v96
	;; [unrolled: 1-line block ×3, first 2 shown]
	v_add_f32_e32 v84, v84, v92
	v_fma_f32 v84, -0.5, v84, v108
	v_sub_f32_e32 v230, v89, v97
	v_sub_f32_e32 v96, v96, v92
	v_mov_b32_e32 v92, v84
	v_fma_f32 v227, -0.5, v211, v108
	v_sub_f32_e32 v228, v85, v93
	v_add_f32_e32 v211, v109, v85
	v_fmac_f32_e32 v92, 0x3f737871, v230
	v_fmac_f32_e32 v84, 0xbf737871, v230
	v_add_f32_e32 v211, v211, v89
	v_add_f32_e32 v88, v88, v96
	v_fmac_f32_e32 v92, 0xbf167918, v228
	v_fmac_f32_e32 v84, 0x3f167918, v228
	v_add_f32_e32 v211, v211, v97
	v_fmac_f32_e32 v92, 0x3e9e377a, v88
	v_fmac_f32_e32 v84, 0x3e9e377a, v88
	v_sub_f32_e32 v88, v89, v85
	v_add_f32_e32 v85, v85, v93
	v_add_f32_e32 v231, v211, v93
	;; [unrolled: 1-line block ×3, first 2 shown]
	v_sub_f32_e32 v89, v97, v93
	v_fma_f32 v85, -0.5, v85, v109
	v_add_f32_e32 v88, v88, v89
	v_mov_b32_e32 v89, v85
	v_fmac_f32_e32 v89, 0xbf737871, v235
	v_fmac_f32_e32 v85, 0x3f737871, v235
	;; [unrolled: 1-line block ×6, first 2 shown]
	v_sub_f32_e32 v88, v104, v100
	v_sub_f32_e32 v93, v116, v112
	v_add_f32_e32 v88, v88, v93
	v_add_f32_e32 v93, v100, v112
	v_fma_f32 v93, -0.5, v93, v120
	v_mov_b32_e32 v96, v93
	v_fmac_f32_e32 v96, 0x3f737871, v220
	v_fmac_f32_e32 v93, 0xbf737871, v220
	v_fmac_f32_e32 v96, 0xbf167918, v219
	v_fmac_f32_e32 v93, 0x3f167918, v219
	v_fmac_f32_e32 v96, 0x3e9e377a, v88
	v_fmac_f32_e32 v93, 0x3e9e377a, v88
	v_sub_f32_e32 v88, v105, v101
	v_sub_f32_e32 v97, v117, v113
	v_add_f32_e32 v88, v88, v97
	v_add_f32_e32 v97, v101, v113
	v_fma_f32 v232, -0.5, v211, v109
	v_add_f32_e32 v211, v120, v100
	v_fma_f32 v97, -0.5, v97, v121
	v_add_f32_e32 v211, v211, v104
	v_mov_b32_e32 v100, v97
	v_add_f32_e32 v211, v211, v116
	v_fmac_f32_e32 v100, 0xbf737871, v223
	v_mov_b32_e32 v229, v227
	v_mov_b32_e32 v234, v232
	v_add_f32_e32 v236, v211, v112
	v_add_f32_e32 v211, v121, v101
	v_fmac_f32_e32 v100, 0x3f167918, v222
	v_fmac_f32_e32 v97, 0x3f737871, v223
	;; [unrolled: 1-line block ×4, first 2 shown]
	v_add_f32_e32 v211, v211, v105
	v_fmac_f32_e32 v100, 0x3e9e377a, v88
	v_fmac_f32_e32 v97, 0xbf167918, v222
	;; [unrolled: 1-line block ×5, first 2 shown]
	v_add_f32_e32 v211, v211, v117
	v_fmac_f32_e32 v97, 0x3e9e377a, v88
	v_mul_f32_e32 v88, 0xbf737871, v100
	v_mul_f32_e32 v100, 0x3e9e377a, v100
	v_fmac_f32_e32 v218, 0x3f737871, v219
	v_fmac_f32_e32 v221, 0xbf167918, v223
	v_fmac_f32_e32 v225, 0x3f4f1bbd, v212
	v_fmac_f32_e32 v229, 0x3e9e377a, v210
	v_fmac_f32_e32 v234, 0x3e9e377a, v215
	v_add_f32_e32 v237, v211, v113
	v_fmac_f32_e32 v88, 0x3e9e377a, v96
	v_fmac_f32_e32 v100, 0x3f737871, v96
	v_mul_f32_e32 v96, 0xbf737871, v97
	v_mul_f32_e32 v97, 0xbe9e377a, v97
	v_fmac_f32_e32 v227, 0x3f737871, v228
	v_fmac_f32_e32 v232, 0xbf737871, v233
	;; [unrolled: 1-line block ×4, first 2 shown]
	v_add_f32_e32 v211, v226, v236
	v_add_f32_e32 v213, v229, v224
	;; [unrolled: 1-line block ×4, first 2 shown]
	v_fmac_f32_e32 v96, 0xbe9e377a, v93
	v_fmac_f32_e32 v97, 0x3f737871, v93
	;; [unrolled: 1-line block ×5, first 2 shown]
	v_mul_f32_e32 v93, 0xbf167918, v221
	v_mul_f32_e32 v101, 0xbf4f1bbd, v221
	s_barrier
	ds_write_b128 v199, v[211:214]
	v_add_f32_e32 v211, v92, v88
	v_add_f32_e32 v213, v84, v96
	v_add_f32_e32 v212, v89, v100
	v_add_f32_e32 v214, v85, v97
	v_fmac_f32_e32 v227, 0x3e9e377a, v210
	v_fmac_f32_e32 v232, 0x3e9e377a, v215
	v_fmac_f32_e32 v93, 0xbf4f1bbd, v218
	v_fmac_f32_e32 v101, 0x3f167918, v218
	ds_write_b128 v199, v[211:214] offset:16
	v_sub_f32_e32 v212, v226, v236
	v_sub_f32_e32 v213, v231, v237
	v_add_f32_e32 v210, v227, v93
	v_add_f32_e32 v211, v232, v101
	ds_write_b128 v199, v[210:213] offset:32
	v_sub_f32_e32 v210, v229, v224
	v_sub_f32_e32 v212, v92, v88
	;; [unrolled: 1-line block ×4, first 2 shown]
	ds_write_b128 v199, v[210:213] offset:48
	v_sub_f32_e32 v210, v84, v96
	v_sub_f32_e32 v211, v85, v97
	v_add_f32_e32 v84, v110, v86
	v_add_f32_e32 v85, v111, v87
	;; [unrolled: 1-line block ×6, first 2 shown]
	v_sub_f32_e32 v212, v227, v93
	v_sub_f32_e32 v213, v232, v101
	v_add_f32_e32 v88, v90, v98
	v_sub_f32_e32 v89, v91, v99
	v_sub_f32_e32 v92, v86, v90
	;; [unrolled: 1-line block ×3, first 2 shown]
	v_add_f32_e32 v96, v91, v99
	v_sub_f32_e32 v90, v90, v98
	v_sub_f32_e32 v97, v87, v91
	;; [unrolled: 1-line block ×4, first 2 shown]
	v_add_f32_e32 v101, v86, v94
	v_sub_f32_e32 v104, v86, v94
	v_add_f32_e32 v105, v87, v95
	v_sub_f32_e32 v86, v94, v98
	v_sub_f32_e32 v98, v98, v94
	;; [unrolled: 1-line block ×4, first 2 shown]
	v_add_f32_e32 v94, v84, v94
	v_add_f32_e32 v95, v85, v95
	;; [unrolled: 1-line block ×10, first 2 shown]
	v_fma_f32 v108, -0.5, v108, v122
	v_fma_f32 v116, -0.5, v116, v123
	ds_write_b128 v199, v[210:213] offset:64
	v_sub_f32_e32 v109, v107, v119
	v_sub_f32_e32 v112, v102, v106
	;; [unrolled: 1-line block ×7, first 2 shown]
	v_add_f32_e32 v121, v102, v114
	v_sub_f32_e32 v102, v102, v114
	v_add_f32_e32 v103, v103, v115
	v_sub_f32_e32 v199, v114, v118
	v_sub_f32_e32 v118, v118, v114
	;; [unrolled: 1-line block ×4, first 2 shown]
	v_add_f32_e32 v114, v84, v114
	v_add_f32_e32 v115, v85, v115
	v_mov_b32_e32 v84, v108
	v_mov_b32_e32 v85, v116
	v_fmac_f32_e32 v84, 0xbf737871, v120
	v_fmac_f32_e32 v85, 0x3f737871, v102
	v_fma_f32 v88, -0.5, v88, v110
	v_fma_f32 v96, -0.5, v96, v111
	v_add_f32_e32 v112, v112, v199
	v_add_f32_e32 v117, v117, v210
	v_fmac_f32_e32 v84, 0xbf167918, v109
	v_fmac_f32_e32 v85, 0x3f167918, v106
	v_mov_b32_e32 v211, v88
	v_mov_b32_e32 v212, v96
	v_fmac_f32_e32 v84, 0x3e9e377a, v112
	v_fmac_f32_e32 v85, 0x3e9e377a, v117
	;; [unrolled: 1-line block ×4, first 2 shown]
	v_add_f32_e32 v92, v92, v86
	v_add_f32_e32 v97, v97, v87
	v_mul_f32_e32 v199, 0xbf167918, v85
	v_mul_f32_e32 v210, 0x3f167918, v84
	v_fmac_f32_e32 v211, 0xbf167918, v89
	v_fmac_f32_e32 v212, 0x3f167918, v90
	;; [unrolled: 1-line block ×6, first 2 shown]
	v_add_f32_e32 v84, v94, v114
	v_add_f32_e32 v86, v211, v199
	;; [unrolled: 1-line block ×4, first 2 shown]
	ds_write_b128 v196, v[84:87]
	v_add_f32_e32 v87, v93, v98
	v_fma_f32 v93, -0.5, v101, v110
	v_mov_b32_e32 v98, v93
	v_fmac_f32_e32 v98, 0x3f737871, v89
	v_fmac_f32_e32 v93, 0xbf737871, v89
	v_fmac_f32_e32 v123, -0.5, v103
	v_fmac_f32_e32 v98, 0xbf167918, v100
	v_fmac_f32_e32 v93, 0x3f167918, v100
	v_fmac_f32_e32 v111, -0.5, v105
	v_fma_f32 v85, -0.5, v121, v122
	v_mov_b32_e32 v86, v123
	v_fmac_f32_e32 v98, 0x3e9e377a, v87
	v_fmac_f32_e32 v93, 0x3e9e377a, v87
	v_add_f32_e32 v87, v91, v99
	v_mov_b32_e32 v91, v111
	v_fmac_f32_e32 v123, 0x3f737871, v106
	v_fmac_f32_e32 v91, 0xbf737871, v90
	;; [unrolled: 1-line block ×3, first 2 shown]
	v_mov_b32_e32 v99, v85
	v_fmac_f32_e32 v86, 0xbf737871, v106
	v_add_f32_e32 v84, v107, v119
	v_fmac_f32_e32 v123, 0xbf167918, v102
	v_fmac_f32_e32 v91, 0x3f167918, v104
	;; [unrolled: 1-line block ×10, first 2 shown]
	v_add_f32_e32 v87, v113, v118
	v_fmac_f32_e32 v99, 0xbf167918, v120
	v_fmac_f32_e32 v85, 0x3f167918, v120
	;; [unrolled: 1-line block ×5, first 2 shown]
	v_mul_f32_e32 v103, 0xbf737871, v123
	v_mul_f32_e32 v107, 0xbe9e377a, v123
	v_fmac_f32_e32 v99, 0x3e9e377a, v87
	v_fmac_f32_e32 v85, 0x3e9e377a, v87
	v_mul_f32_e32 v101, 0xbf737871, v86
	v_mul_f32_e32 v105, 0x3e9e377a, v86
	v_fmac_f32_e32 v88, 0x3f737871, v100
	v_fmac_f32_e32 v96, 0xbf737871, v104
	;; [unrolled: 1-line block ×11, first 2 shown]
	v_mul_f32_e32 v89, 0xbf167918, v116
	v_mul_f32_e32 v90, 0xbf4f1bbd, v116
	v_add_f32_e32 v84, v98, v101
	v_add_f32_e32 v86, v93, v103
	;; [unrolled: 1-line block ×4, first 2 shown]
	v_fmac_f32_e32 v88, 0x3e9e377a, v92
	v_fmac_f32_e32 v96, 0x3e9e377a, v97
	;; [unrolled: 1-line block ×4, first 2 shown]
	ds_write_b128 v196, v[84:87] offset:16
	v_sub_f32_e32 v86, v94, v114
	v_sub_f32_e32 v87, v95, v115
	v_add_f32_e32 v84, v88, v89
	v_add_f32_e32 v85, v96, v90
	ds_write_b128 v196, v[84:87] offset:32
	v_sub_f32_e32 v84, v211, v199
	v_sub_f32_e32 v86, v98, v101
	;; [unrolled: 1-line block ×4, first 2 shown]
	ds_write_b128 v196, v[84:87] offset:48
	v_sub_f32_e32 v85, v111, v107
	v_sub_f32_e32 v84, v93, v103
	;; [unrolled: 1-line block ×4, first 2 shown]
	ds_write_b128 v196, v[84:87] offset:64
	s_waitcnt lgkmcnt(0)
	s_barrier
	ds_read2_b64 v[86:89], v193 offset0:16 offset1:216
	ds_read2_b64 v[90:93], v192 offset0:32 offset1:232
	;; [unrolled: 1-line block ×3, first 2 shown]
	ds_read2_b64 v[98:101], v190 offset1:200
	s_waitcnt lgkmcnt(3)
	v_mul_f32_e32 v84, v13, v87
	v_mul_f32_e32 v13, v13, v86
	v_fmac_f32_e32 v84, v12, v86
	v_fma_f32 v85, v12, v87, -v13
	s_waitcnt lgkmcnt(2)
	v_mul_f32_e32 v12, v15, v90
	v_mul_f32_e32 v87, v15, v91
	v_fma_f32 v86, v14, v91, -v12
	v_mul_f32_e32 v12, v21, v89
	v_mul_f32_e32 v13, v21, v88
	v_fmac_f32_e32 v87, v14, v90
	v_fmac_f32_e32 v12, v20, v88
	v_fma_f32 v13, v20, v89, -v13
	v_mul_f32_e32 v20, v23, v93
	v_mul_f32_e32 v14, v23, v92
	s_waitcnt lgkmcnt(1)
	v_mul_f32_e32 v15, v17, v94
	v_fmac_f32_e32 v20, v22, v92
	v_fma_f32 v14, v22, v93, -v14
	v_fma_f32 v22, v16, v95, -v15
	s_waitcnt lgkmcnt(0)
	v_mul_f32_e32 v15, v19, v98
	v_mul_f32_e32 v23, v17, v95
	v_fma_f32 v89, v18, v99, -v15
	v_mul_f32_e32 v15, v9, v97
	v_fmac_f32_e32 v23, v16, v94
	v_mul_f32_e32 v91, v19, v99
	v_fmac_f32_e32 v15, v8, v96
	v_mul_f32_e32 v9, v9, v96
	v_mul_f32_e32 v16, v11, v101
	ds_read2_b64 v[93:96], v189 offset0:16 offset1:216
	v_fmac_f32_e32 v91, v18, v98
	v_fma_f32 v8, v8, v97, -v9
	v_fmac_f32_e32 v16, v10, v100
	v_mul_f32_e32 v9, v11, v100
	ds_read2_b64 v[97:100], v188 offset0:32 offset1:232
	s_waitcnt lgkmcnt(1)
	v_mul_f32_e32 v90, v5, v94
	v_mul_f32_e32 v5, v5, v93
	v_fmac_f32_e32 v90, v4, v93
	v_fma_f32 v88, v4, v94, -v5
	s_waitcnt lgkmcnt(0)
	v_mul_f32_e32 v4, v7, v97
	v_mul_f32_e32 v5, v1, v96
	;; [unrolled: 1-line block ×3, first 2 shown]
	v_fma_f32 v92, v6, v98, -v4
	v_fmac_f32_e32 v5, v0, v95
	v_fma_f32 v4, v0, v96, -v1
	v_mul_f32_e32 v11, v3, v100
	v_mul_f32_e32 v0, v3, v99
	;; [unrolled: 1-line block ×3, first 2 shown]
	v_fmac_f32_e32 v11, v2, v99
	v_fma_f32 v7, v2, v100, -v0
	ds_read2_b64 v[0:3], v186 offset1:200
	v_fmac_f32_e32 v94, v6, v97
	ds_read2_b64 v[95:98], v187 offset0:48 offset1:248
	v_fma_f32 v9, v10, v101, -v9
	v_sub_f32_e32 v112, v89, v92
	s_waitcnt lgkmcnt(1)
	v_mul_f32_e32 v99, v27, v1
	v_fmac_f32_e32 v99, v26, v0
	v_mul_f32_e32 v0, v27, v0
	s_waitcnt lgkmcnt(0)
	v_mul_f32_e32 v93, v25, v96
	v_mul_f32_e32 v6, v25, v95
	v_fma_f32 v27, v26, v1, -v0
	v_mul_f32_e32 v10, v29, v98
	v_mul_f32_e32 v0, v29, v97
	v_fmac_f32_e32 v93, v24, v95
	v_fma_f32 v24, v24, v96, -v6
	v_fmac_f32_e32 v10, v28, v97
	v_fma_f32 v6, v28, v98, -v0
	ds_read2_b64 v[95:98], v194 offset0:16 offset1:216
	v_mul_f32_e32 v0, v31, v2
	v_fma_f32 v19, v30, v3, -v0
	v_sub_f32_e32 v1, v99, v94
	v_mul_f32_e32 v21, v31, v3
	s_waitcnt lgkmcnt(0)
	v_mul_f32_e32 v0, v168, v95
	v_fma_f32 v26, v167, v96, -v0
	v_mul_f32_e32 v0, v166, v97
	v_mul_f32_e32 v100, v168, v96
	v_fma_f32 v17, v165, v98, -v0
	v_sub_f32_e32 v0, v87, v91
	v_fmac_f32_e32 v100, v167, v95
	v_add_f32_e32 v25, v0, v1
	v_sub_f32_e32 v0, v86, v89
	v_sub_f32_e32 v1, v27, v92
	v_add_f32_e32 v95, v0, v1
	v_sub_f32_e32 v0, v23, v90
	v_sub_f32_e32 v1, v100, v93
	v_mul_f32_e32 v18, v166, v98
	v_add_f32_e32 v96, v0, v1
	v_sub_f32_e32 v0, v22, v88
	v_sub_f32_e32 v1, v26, v24
	v_fmac_f32_e32 v18, v165, v97
	v_add_f32_e32 v97, v0, v1
	v_add_f32_e32 v0, v90, v93
	v_fma_f32 v98, -0.5, v0, v84
	v_add_f32_e32 v0, v88, v24
	v_fma_f32 v103, -0.5, v0, v85
	v_fmac_f32_e32 v21, v30, v2
	v_sub_f32_e32 v104, v23, v100
	v_mov_b32_e32 v29, v103
	ds_read2_b64 v[0:3], v185 offset1:200
	v_sub_f32_e32 v101, v22, v26
	v_mov_b32_e32 v28, v98
	v_fmac_f32_e32 v29, 0x3f737871, v104
	v_sub_f32_e32 v105, v90, v93
	v_fmac_f32_e32 v28, 0xbf737871, v101
	v_sub_f32_e32 v102, v88, v24
	v_fmac_f32_e32 v29, 0x3f167918, v105
	v_fmac_f32_e32 v28, 0xbf167918, v102
	;; [unrolled: 1-line block ×4, first 2 shown]
	v_mul_f32_e32 v106, 0xbf167918, v29
	v_mul_f32_e32 v107, 0x3f4f1bbd, v29
	v_fmac_f32_e32 v106, 0x3f4f1bbd, v28
	v_fmac_f32_e32 v107, 0x3f167918, v28
	s_waitcnt lgkmcnt(0)
	v_add_f32_e32 v28, v0, v87
	v_add_f32_e32 v28, v28, v91
	;; [unrolled: 1-line block ×5, first 2 shown]
	v_fma_f32 v109, -0.5, v28, v0
	v_add_f32_e32 v28, v1, v86
	v_add_f32_e32 v28, v28, v89
	;; [unrolled: 1-line block ×5, first 2 shown]
	v_fma_f32 v114, -0.5, v28, v1
	v_add_f32_e32 v28, v84, v23
	v_add_f32_e32 v28, v28, v90
	;; [unrolled: 1-line block ×3, first 2 shown]
	v_sub_f32_e32 v110, v86, v27
	v_mov_b32_e32 v111, v109
	v_sub_f32_e32 v115, v87, v99
	v_mov_b32_e32 v116, v114
	v_add_f32_e32 v118, v28, v100
	v_add_f32_e32 v28, v85, v22
	v_fmac_f32_e32 v111, 0xbf737871, v110
	v_fmac_f32_e32 v116, 0x3f737871, v115
	v_sub_f32_e32 v117, v91, v94
	v_add_f32_e32 v28, v28, v88
	v_fmac_f32_e32 v111, 0xbf167918, v112
	v_fmac_f32_e32 v116, 0x3f167918, v117
	v_add_f32_e32 v28, v28, v24
	v_fmac_f32_e32 v111, 0x3e9e377a, v25
	v_fmac_f32_e32 v116, 0x3e9e377a, v95
	v_add_f32_e32 v119, v28, v26
	v_add_f32_e32 v28, v108, v118
	;; [unrolled: 1-line block ×5, first 2 shown]
	s_barrier
	ds_write2_b64 v195, v[28:29], v[30:31] offset1:10
	v_add_f32_e32 v29, v87, v99
	v_sub_f32_e32 v28, v91, v87
	v_sub_f32_e32 v30, v94, v99
	v_fma_f32 v29, -0.5, v29, v0
	v_add_f32_e32 v28, v28, v30
	v_mov_b32_e32 v30, v29
	v_fmac_f32_e32 v30, 0x3f737871, v112
	v_fmac_f32_e32 v29, 0xbf737871, v112
	;; [unrolled: 1-line block ×6, first 2 shown]
	v_sub_f32_e32 v0, v89, v86
	v_add_f32_e32 v28, v86, v27
	v_sub_f32_e32 v27, v92, v27
	v_add_f32_e32 v0, v0, v27
	v_fma_f32 v27, -0.5, v28, v1
	v_mov_b32_e32 v28, v27
	v_fmac_f32_e32 v28, 0xbf737871, v117
	v_fmac_f32_e32 v27, 0x3f737871, v117
	;; [unrolled: 1-line block ×6, first 2 shown]
	v_add_f32_e32 v0, v23, v100
	v_fmac_f32_e32 v84, -0.5, v0
	v_sub_f32_e32 v0, v90, v23
	v_sub_f32_e32 v1, v93, v100
	v_add_f32_e32 v0, v0, v1
	v_mov_b32_e32 v1, v84
	v_fmac_f32_e32 v1, 0x3f737871, v102
	v_fmac_f32_e32 v84, 0xbf737871, v102
	;; [unrolled: 1-line block ×6, first 2 shown]
	v_add_f32_e32 v0, v22, v26
	v_fmac_f32_e32 v85, -0.5, v0
	v_sub_f32_e32 v0, v88, v22
	v_sub_f32_e32 v22, v24, v26
	v_add_f32_e32 v0, v0, v22
	v_mov_b32_e32 v22, v85
	v_fmac_f32_e32 v22, 0xbf737871, v105
	v_fmac_f32_e32 v85, 0x3f737871, v105
	v_fmac_f32_e32 v22, 0x3f167918, v104
	v_fmac_f32_e32 v85, 0xbf167918, v104
	v_fmac_f32_e32 v103, 0xbf737871, v104
	v_fmac_f32_e32 v22, 0x3e9e377a, v0
	v_fmac_f32_e32 v85, 0x3e9e377a, v0
	v_fmac_f32_e32 v109, 0x3f737871, v110
	v_fmac_f32_e32 v98, 0x3f737871, v101
	v_fmac_f32_e32 v103, 0xbf167918, v105
	v_mul_f32_e32 v24, 0xbf737871, v22
	v_mul_f32_e32 v26, 0x3e9e377a, v22
	;; [unrolled: 1-line block ×4, first 2 shown]
	v_fmac_f32_e32 v109, 0x3f167918, v112
	v_fmac_f32_e32 v114, 0xbf737871, v115
	;; [unrolled: 1-line block ×11, first 2 shown]
	v_mul_f32_e32 v25, 0xbf167918, v103
	v_mul_f32_e32 v84, 0xbf4f1bbd, v103
	v_add_f32_e32 v0, v30, v24
	v_add_f32_e32 v1, v28, v26
	v_add_f32_e32 v22, v29, v31
	v_add_f32_e32 v23, v27, v85
	v_fmac_f32_e32 v114, 0x3e9e377a, v95
	v_fmac_f32_e32 v25, 0xbf4f1bbd, v98
	;; [unrolled: 1-line block ×3, first 2 shown]
	ds_write2_b64 v195, v[0:1], v[22:23] offset0:20 offset1:30
	v_sub_f32_e32 v0, v108, v118
	v_sub_f32_e32 v1, v113, v119
	v_add_f32_e32 v22, v109, v25
	v_add_f32_e32 v23, v114, v84
	ds_write2_b64 v195, v[22:23], v[0:1] offset0:40 offset1:50
	v_sub_f32_e32 v0, v111, v106
	v_sub_f32_e32 v1, v116, v107
	;; [unrolled: 1-line block ×4, first 2 shown]
	ds_write2_b64 v195, v[0:1], v[22:23] offset0:60 offset1:70
	v_sub_f32_e32 v0, v29, v31
	v_sub_f32_e32 v1, v27, v85
	;; [unrolled: 1-line block ×4, first 2 shown]
	ds_write2_b64 v195, v[0:1], v[22:23] offset0:80 offset1:90
	v_sub_f32_e32 v0, v20, v16
	v_sub_f32_e32 v1, v21, v11
	v_add_f32_e32 v24, v0, v1
	v_sub_f32_e32 v0, v14, v9
	v_sub_f32_e32 v1, v19, v7
	v_add_f32_e32 v25, v0, v1
	v_sub_f32_e32 v0, v15, v5
	v_sub_f32_e32 v1, v18, v10
	v_add_f32_e32 v26, v0, v1
	v_sub_f32_e32 v0, v8, v4
	v_sub_f32_e32 v1, v17, v6
	v_add_f32_e32 v27, v0, v1
	v_add_f32_e32 v1, v4, v6
	v_add_f32_e32 v0, v5, v10
	v_fma_f32 v31, -0.5, v1, v13
	v_fma_f32 v28, -0.5, v0, v12
	v_sub_f32_e32 v84, v15, v18
	v_mov_b32_e32 v1, v31
	v_sub_f32_e32 v29, v8, v17
	v_mov_b32_e32 v0, v28
	v_fmac_f32_e32 v1, 0x3f737871, v84
	v_sub_f32_e32 v85, v5, v10
	v_fmac_f32_e32 v0, 0xbf737871, v29
	v_sub_f32_e32 v30, v4, v6
	v_fmac_f32_e32 v1, 0x3f167918, v85
	v_fmac_f32_e32 v0, 0xbf167918, v30
	;; [unrolled: 1-line block ×4, first 2 shown]
	v_mul_f32_e32 v86, 0xbf167918, v1
	v_mul_f32_e32 v87, 0x3f4f1bbd, v1
	v_fmac_f32_e32 v86, 0x3f4f1bbd, v0
	v_fmac_f32_e32 v87, 0x3f167918, v0
	v_add_f32_e32 v0, v2, v20
	v_add_f32_e32 v0, v0, v16
	;; [unrolled: 1-line block ×5, first 2 shown]
	v_fma_f32 v89, -0.5, v0, v2
	v_add_f32_e32 v0, v3, v14
	v_add_f32_e32 v0, v0, v9
	;; [unrolled: 1-line block ×5, first 2 shown]
	v_fma_f32 v94, -0.5, v0, v3
	v_add_f32_e32 v0, v12, v15
	v_add_f32_e32 v0, v0, v5
	;; [unrolled: 1-line block ×3, first 2 shown]
	v_sub_f32_e32 v90, v14, v19
	v_mov_b32_e32 v91, v89
	v_sub_f32_e32 v95, v20, v21
	v_mov_b32_e32 v96, v94
	v_add_f32_e32 v98, v0, v18
	v_add_f32_e32 v0, v13, v8
	v_fmac_f32_e32 v91, 0xbf737871, v90
	v_sub_f32_e32 v92, v9, v7
	v_fmac_f32_e32 v96, 0x3f737871, v95
	v_sub_f32_e32 v97, v16, v11
	v_add_f32_e32 v0, v0, v4
	v_fmac_f32_e32 v91, 0xbf167918, v92
	v_fmac_f32_e32 v96, 0x3f167918, v97
	v_add_f32_e32 v0, v0, v6
	v_fmac_f32_e32 v91, 0x3e9e377a, v24
	v_fmac_f32_e32 v96, 0x3e9e377a, v25
	v_add_f32_e32 v99, v0, v17
	v_add_f32_e32 v0, v88, v98
	;; [unrolled: 1-line block ×5, first 2 shown]
	ds_write2_b64 v200, v[0:1], v[22:23] offset1:10
	v_add_f32_e32 v1, v20, v21
	v_sub_f32_e32 v0, v16, v20
	v_sub_f32_e32 v11, v11, v21
	v_fma_f32 v2, -0.5, v1, v2
	v_add_f32_e32 v0, v0, v11
	v_mov_b32_e32 v11, v2
	v_fmac_f32_e32 v11, 0x3f737871, v92
	v_fmac_f32_e32 v2, 0xbf737871, v92
	;; [unrolled: 1-line block ×6, first 2 shown]
	v_add_f32_e32 v0, v14, v19
	v_fmac_f32_e32 v3, -0.5, v0
	v_sub_f32_e32 v1, v7, v19
	v_mov_b32_e32 v7, v3
	v_sub_f32_e32 v0, v9, v14
	v_fmac_f32_e32 v7, 0xbf737871, v97
	v_fmac_f32_e32 v3, 0x3f737871, v97
	v_add_f32_e32 v0, v0, v1
	v_fmac_f32_e32 v7, 0x3f167918, v95
	v_fmac_f32_e32 v3, 0xbf167918, v95
	;; [unrolled: 1-line block ×4, first 2 shown]
	v_add_f32_e32 v0, v15, v18
	v_fmac_f32_e32 v12, -0.5, v0
	v_sub_f32_e32 v0, v5, v15
	v_sub_f32_e32 v1, v10, v18
	v_add_f32_e32 v0, v0, v1
	v_mov_b32_e32 v1, v12
	v_fmac_f32_e32 v1, 0x3f737871, v30
	v_fmac_f32_e32 v12, 0xbf737871, v30
	v_fmac_f32_e32 v1, 0xbf167918, v29
	v_fmac_f32_e32 v12, 0x3f167918, v29
	v_fmac_f32_e32 v1, 0x3e9e377a, v0
	v_fmac_f32_e32 v12, 0x3e9e377a, v0
	v_add_f32_e32 v0, v8, v17
	v_fmac_f32_e32 v13, -0.5, v0
	v_sub_f32_e32 v0, v4, v8
	v_sub_f32_e32 v4, v6, v17
	v_add_f32_e32 v0, v0, v4
	v_mov_b32_e32 v4, v13
	v_fmac_f32_e32 v4, 0xbf737871, v85
	v_fmac_f32_e32 v13, 0x3f737871, v85
	;; [unrolled: 1-line block ×9, first 2 shown]
	v_mul_f32_e32 v6, 0xbf737871, v4
	v_mul_f32_e32 v8, 0x3e9e377a, v4
	;; [unrolled: 1-line block ×4, first 2 shown]
	v_fmac_f32_e32 v89, 0x3f737871, v90
	v_fmac_f32_e32 v94, 0xbf737871, v95
	;; [unrolled: 1-line block ×11, first 2 shown]
	v_mul_f32_e32 v12, 0xbf167918, v31
	v_mul_f32_e32 v13, 0xbf4f1bbd, v31
	v_add_f32_e32 v0, v11, v6
	v_add_f32_e32 v1, v7, v8
	;; [unrolled: 1-line block ×4, first 2 shown]
	v_fmac_f32_e32 v89, 0x3e9e377a, v24
	v_fmac_f32_e32 v94, 0x3e9e377a, v25
	;; [unrolled: 1-line block ×4, first 2 shown]
	ds_write2_b64 v200, v[0:1], v[4:5] offset0:20 offset1:30
	v_sub_f32_e32 v0, v88, v98
	v_sub_f32_e32 v1, v93, v99
	v_add_f32_e32 v4, v89, v12
	v_add_f32_e32 v5, v94, v13
	ds_write2_b64 v200, v[4:5], v[0:1] offset0:40 offset1:50
	v_sub_f32_e32 v0, v91, v86
	v_sub_f32_e32 v1, v96, v87
	;; [unrolled: 1-line block ×4, first 2 shown]
	ds_write2_b64 v200, v[0:1], v[4:5] offset0:60 offset1:70
	v_sub_f32_e32 v1, v3, v10
	v_sub_f32_e32 v0, v2, v9
	v_sub_f32_e32 v2, v89, v12
	v_sub_f32_e32 v3, v94, v13
	ds_write2_b64 v200, v[0:1], v[2:3] offset0:80 offset1:90
	s_waitcnt lgkmcnt(0)
	s_barrier
	ds_read2_b64 v[0:3], v193 offset0:16 offset1:216
	ds_read2_b64 v[4:7], v192 offset0:32 offset1:232
	ds_read2_b64 v[12:15], v190 offset1:200
	ds_read2_b64 v[16:19], v188 offset0:32 offset1:232
	s_waitcnt lgkmcnt(3)
	v_mul_f32_e32 v22, v49, v1
	v_fmac_f32_e32 v22, v48, v0
	v_mul_f32_e32 v0, v49, v0
	v_fma_f32 v23, v48, v1, -v0
	s_waitcnt lgkmcnt(2)
	v_mul_f32_e32 v25, v51, v5
	v_mul_f32_e32 v0, v51, v4
	v_fmac_f32_e32 v25, v50, v4
	v_fma_f32 v24, v50, v5, -v0
	v_mul_f32_e32 v4, v77, v3
	v_mul_f32_e32 v0, v77, v2
	v_fmac_f32_e32 v4, v76, v2
	v_fma_f32 v5, v76, v3, -v0
	ds_read2_b64 v[0:3], v191 offset0:48 offset1:248
	v_mul_f32_e32 v9, v79, v7
	v_fmac_f32_e32 v9, v78, v6
	v_mul_f32_e32 v6, v79, v6
	v_fma_f32 v8, v78, v7, -v6
	s_waitcnt lgkmcnt(0)
	v_mul_f32_e32 v27, v81, v1
	v_fmac_f32_e32 v27, v80, v0
	v_mul_f32_e32 v0, v81, v0
	v_fma_f32 v26, v80, v1, -v0
	v_mul_f32_e32 v0, v83, v12
	v_fma_f32 v31, v82, v13, -v0
	v_mul_f32_e32 v7, v65, v3
	v_mul_f32_e32 v0, v65, v2
	v_fmac_f32_e32 v7, v64, v2
	v_fma_f32 v6, v64, v3, -v0
	ds_read2_b64 v[0:3], v189 offset0:16 offset1:216
	v_mul_f32_e32 v49, v83, v13
	v_mul_f32_e32 v10, v67, v14
	v_fmac_f32_e32 v49, v82, v12
	v_fma_f32 v12, v66, v15, -v10
	s_waitcnt lgkmcnt(0)
	v_mul_f32_e32 v48, v73, v1
	v_fmac_f32_e32 v48, v72, v0
	v_mul_f32_e32 v0, v73, v0
	v_fma_f32 v29, v72, v1, -v0
	v_mul_f32_e32 v0, v75, v16
	v_fma_f32 v51, v74, v17, -v0
	v_mul_f32_e32 v11, v53, v3
	v_mul_f32_e32 v0, v53, v2
	v_fmac_f32_e32 v11, v52, v2
	v_fma_f32 v10, v52, v3, -v0
	ds_read2_b64 v[0:3], v187 offset0:48 offset1:248
	v_mul_f32_e32 v64, v75, v17
	v_fmac_f32_e32 v64, v74, v16
	ds_read2_b64 v[72:75], v186 offset1:200
	v_mul_f32_e32 v13, v67, v15
	s_waitcnt lgkmcnt(1)
	v_mul_f32_e32 v52, v57, v1
	v_fmac_f32_e32 v52, v56, v0
	v_mul_f32_e32 v0, v57, v0
	v_fma_f32 v50, v56, v1, -v0
	s_waitcnt lgkmcnt(0)
	v_mul_f32_e32 v0, v59, v72
	v_fmac_f32_e32 v13, v66, v14
	v_mul_f32_e32 v17, v55, v19
	v_mul_f32_e32 v14, v55, v18
	v_fma_f32 v55, v58, v73, -v0
	v_mul_f32_e32 v15, v61, v3
	v_mul_f32_e32 v0, v61, v2
	v_fma_f32 v16, v54, v19, -v14
	v_fmac_f32_e32 v15, v60, v2
	v_fma_f32 v14, v60, v3, -v0
	ds_read2_b64 v[0:3], v194 offset0:16 offset1:216
	v_mul_f32_e32 v65, v59, v73
	v_fmac_f32_e32 v17, v54, v18
	v_fmac_f32_e32 v65, v58, v72
	v_mul_f32_e32 v18, v63, v74
	s_waitcnt lgkmcnt(0)
	v_mul_f32_e32 v60, v176, v1
	v_fmac_f32_e32 v60, v175, v0
	v_mul_f32_e32 v0, v176, v0
	v_fma_f32 v54, v175, v1, -v0
	v_mul_f32_e32 v0, v174, v2
	v_fma_f32 v20, v62, v75, -v18
	v_fma_f32 v18, v173, v3, -v0
	v_sub_f32_e32 v0, v25, v49
	v_sub_f32_e32 v1, v65, v64
	v_add_f32_e32 v53, v0, v1
	v_sub_f32_e32 v0, v24, v31
	v_sub_f32_e32 v1, v55, v51
	v_mul_f32_e32 v21, v63, v75
	v_add_f32_e32 v61, v0, v1
	v_sub_f32_e32 v0, v27, v48
	v_sub_f32_e32 v1, v60, v52
	v_fmac_f32_e32 v21, v62, v74
	v_add_f32_e32 v62, v0, v1
	v_sub_f32_e32 v0, v26, v29
	v_sub_f32_e32 v1, v54, v50
	v_add_f32_e32 v63, v0, v1
	v_add_f32_e32 v0, v48, v52
	v_fma_f32 v66, -0.5, v0, v22
	v_add_f32_e32 v0, v29, v50
	v_mul_f32_e32 v19, v174, v3
	v_fma_f32 v73, -0.5, v0, v23
	v_fmac_f32_e32 v19, v173, v2
	v_sub_f32_e32 v74, v27, v60
	v_mov_b32_e32 v30, v73
	ds_read2_b64 v[0:3], v185 offset1:200
	v_sub_f32_e32 v67, v26, v54
	v_mov_b32_e32 v28, v66
	v_fmac_f32_e32 v30, 0x3f737871, v74
	v_sub_f32_e32 v75, v48, v52
	v_fmac_f32_e32 v28, 0xbf737871, v67
	v_sub_f32_e32 v72, v29, v50
	v_fmac_f32_e32 v30, 0x3f167918, v75
	v_fmac_f32_e32 v28, 0xbf167918, v72
	;; [unrolled: 1-line block ×4, first 2 shown]
	v_mul_f32_e32 v76, 0xbf167918, v30
	v_mul_f32_e32 v77, 0x3f4f1bbd, v30
	v_fmac_f32_e32 v76, 0x3f4f1bbd, v28
	v_fmac_f32_e32 v77, 0x3f167918, v28
	s_waitcnt lgkmcnt(0)
	v_add_f32_e32 v28, v0, v25
	v_add_f32_e32 v28, v28, v49
	;; [unrolled: 1-line block ×7, first 2 shown]
	v_sub_f32_e32 v83, v25, v65
	v_sub_f32_e32 v85, v49, v64
	;; [unrolled: 1-line block ×3, first 2 shown]
	v_add_f32_e32 v25, v25, v65
	v_fma_f32 v28, -0.5, v28, v0
	v_sub_f32_e32 v79, v24, v55
	v_add_f32_e32 v30, v30, v51
	v_fma_f32 v25, -0.5, v25, v0
	v_sub_f32_e32 v0, v31, v24
	v_add_f32_e32 v24, v24, v55
	v_sub_f32_e32 v81, v31, v51
	v_add_f32_e32 v82, v30, v55
	v_add_f32_e32 v30, v31, v51
	v_sub_f32_e32 v31, v51, v55
	v_fma_f32 v24, -0.5, v24, v1
	v_add_f32_e32 v0, v0, v31
	v_mov_b32_e32 v31, v24
	v_fmac_f32_e32 v31, 0xbf737871, v85
	v_fmac_f32_e32 v24, 0x3f737871, v85
	;; [unrolled: 1-line block ×4, first 2 shown]
	v_add_f32_e32 v56, v22, v27
	v_fmac_f32_e32 v31, 0x3e9e377a, v0
	v_fmac_f32_e32 v24, 0x3e9e377a, v0
	v_add_f32_e32 v0, v27, v60
	v_fma_f32 v30, -0.5, v30, v1
	v_add_f32_e32 v56, v56, v48
	v_fmac_f32_e32 v22, -0.5, v0
	v_sub_f32_e32 v0, v48, v27
	v_sub_f32_e32 v1, v52, v60
	v_add_f32_e32 v56, v56, v52
	v_add_f32_e32 v0, v0, v1
	v_mov_b32_e32 v1, v22
	v_mov_b32_e32 v80, v28
	;; [unrolled: 1-line block ×3, first 2 shown]
	v_add_f32_e32 v86, v56, v60
	v_add_f32_e32 v56, v23, v26
	v_fmac_f32_e32 v1, 0x3f737871, v72
	v_fmac_f32_e32 v22, 0xbf737871, v72
	;; [unrolled: 1-line block ×4, first 2 shown]
	v_add_f32_e32 v56, v56, v29
	v_fmac_f32_e32 v1, 0xbf167918, v67
	v_fmac_f32_e32 v22, 0x3f167918, v67
	;; [unrolled: 1-line block ×4, first 2 shown]
	v_add_f32_e32 v56, v56, v50
	v_fmac_f32_e32 v1, 0x3e9e377a, v0
	v_fmac_f32_e32 v22, 0x3e9e377a, v0
	v_add_f32_e32 v0, v26, v54
	v_fmac_f32_e32 v80, 0x3e9e377a, v53
	v_fmac_f32_e32 v84, 0x3e9e377a, v61
	v_add_f32_e32 v87, v56, v54
	v_fmac_f32_e32 v23, -0.5, v0
	v_sub_f32_e32 v0, v29, v26
	v_sub_f32_e32 v26, v50, v54
	v_add_f32_e32 v56, v78, v86
	v_add_f32_e32 v57, v82, v87
	;; [unrolled: 1-line block ×5, first 2 shown]
	v_mov_b32_e32 v26, v23
	s_barrier
	ds_write2_b64 v206, v[56:57], v[58:59] offset1:100
	v_sub_f32_e32 v56, v64, v65
	v_fmac_f32_e32 v26, 0xbf737871, v75
	v_fmac_f32_e32 v23, 0x3f737871, v75
	v_add_f32_e32 v49, v49, v56
	v_mov_b32_e32 v56, v25
	v_fmac_f32_e32 v26, 0x3f167918, v74
	v_fmac_f32_e32 v23, 0xbf167918, v74
	;; [unrolled: 1-line block ×11, first 2 shown]
	v_mul_f32_e32 v27, 0xbf737871, v26
	v_mul_f32_e32 v26, 0x3e9e377a, v26
	v_mul_f32_e32 v29, 0xbf737871, v23
	v_mul_f32_e32 v48, 0xbe9e377a, v23
	v_fmac_f32_e32 v28, 0x3f737871, v79
	v_fmac_f32_e32 v30, 0xbf737871, v83
	;; [unrolled: 1-line block ×13, first 2 shown]
	v_mul_f32_e32 v49, 0xbf167918, v73
	v_mul_f32_e32 v50, 0xbf4f1bbd, v73
	v_add_f32_e32 v0, v56, v27
	v_add_f32_e32 v1, v31, v26
	;; [unrolled: 1-line block ×4, first 2 shown]
	v_fmac_f32_e32 v28, 0x3e9e377a, v53
	v_fmac_f32_e32 v30, 0x3e9e377a, v61
	;; [unrolled: 1-line block ×4, first 2 shown]
	ds_write2_b64 v207, v[0:1], v[22:23] offset0:72 offset1:172
	v_sub_f32_e32 v0, v78, v86
	v_sub_f32_e32 v1, v82, v87
	v_add_f32_e32 v22, v28, v49
	v_add_f32_e32 v23, v30, v50
	ds_write2_b64 v208, v[22:23], v[0:1] offset0:144 offset1:244
	v_sub_f32_e32 v0, v80, v76
	v_sub_f32_e32 v1, v84, v77
	;; [unrolled: 1-line block ×4, first 2 shown]
	ds_write2_b64 v203, v[0:1], v[22:23] offset0:88 offset1:188
	v_add_f32_e32 v0, v12, v16
	v_add_f32_e32 v1, v8, v20
	v_fma_f32 v26, -0.5, v0, v3
	v_add_f32_e32 v0, v3, v8
	v_fmac_f32_e32 v3, -0.5, v1
	v_sub_f32_e32 v1, v12, v8
	v_sub_f32_e32 v22, v16, v20
	v_add_f32_e32 v27, v1, v22
	v_add_f32_e32 v1, v11, v15
	v_fma_f32 v31, -0.5, v1, v4
	v_add_f32_e32 v1, v7, v19
	v_add_f32_e32 v51, v4, v7
	v_fmac_f32_e32 v4, -0.5, v1
	v_sub_f32_e32 v1, v11, v7
	v_sub_f32_e32 v22, v15, v19
	v_add_f32_e32 v52, v1, v22
	v_add_f32_e32 v1, v10, v14
	v_fma_f32 v53, -0.5, v1, v5
	v_add_f32_e32 v1, v6, v18
	v_add_f32_e32 v54, v5, v6
	v_fmac_f32_e32 v5, -0.5, v1
	v_sub_f32_e32 v1, v10, v6
	v_sub_f32_e32 v22, v14, v18
	;; [unrolled: 1-line block ×3, first 2 shown]
	v_add_f32_e32 v55, v1, v22
	v_add_f32_e32 v1, v13, v17
	v_sub_f32_e32 v61, v10, v14
	v_mov_b32_e32 v65, v5
	v_fmac_f32_e32 v5, 0x3f737871, v64
	v_sub_f32_e32 v66, v7, v19
	v_fma_f32 v56, -0.5, v1, v2
	v_add_f32_e32 v1, v9, v21
	v_sub_f32_e32 v58, v13, v17
	v_mov_b32_e32 v62, v4
	v_fmac_f32_e32 v4, 0xbf737871, v61
	v_sub_f32_e32 v63, v6, v18
	v_fmac_f32_e32 v5, 0xbf167918, v66
	v_fma_f32 v57, -0.5, v1, v2
	v_mov_b32_e32 v59, v3
	v_fmac_f32_e32 v3, 0x3f737871, v58
	v_sub_f32_e32 v60, v9, v21
	v_fmac_f32_e32 v4, 0x3f167918, v63
	v_fmac_f32_e32 v5, 0x3e9e377a, v55
	v_add_f32_e32 v2, v2, v9
	v_fmac_f32_e32 v3, 0xbf167918, v60
	v_fmac_f32_e32 v4, 0x3e9e377a, v52
	v_mul_f32_e32 v22, 0xbe9e377a, v5
	v_add_f32_e32 v2, v2, v13
	v_fmac_f32_e32 v3, 0x3e9e377a, v27
	v_fmac_f32_e32 v22, 0x3f737871, v4
	v_add_f32_e32 v2, v2, v17
	v_add_f32_e32 v1, v3, v22
	v_sub_f32_e32 v3, v3, v22
	v_sub_f32_e32 v22, v25, v29
	;; [unrolled: 1-line block ×8, first 2 shown]
	v_add_f32_e32 v13, v2, v21
	v_sub_f32_e32 v2, v17, v21
	v_mov_b32_e32 v17, v57
	v_add_f32_e32 v28, v28, v29
	v_sub_f32_e32 v29, v8, v20
	v_fmac_f32_e32 v17, 0x3f737871, v48
	v_fmac_f32_e32 v57, 0xbf737871, v48
	v_add_f32_e32 v2, v9, v2
	v_fmac_f32_e32 v17, 0xbf167918, v29
	v_fmac_f32_e32 v57, 0x3f167918, v29
	v_add_f32_e32 v0, v0, v12
	v_fmac_f32_e32 v17, 0x3e9e377a, v2
	v_fmac_f32_e32 v57, 0x3e9e377a, v2
	v_sub_f32_e32 v2, v8, v12
	v_add_f32_e32 v0, v0, v16
	v_mov_b32_e32 v12, v26
	v_add_f32_e32 v8, v0, v20
	v_sub_f32_e32 v0, v20, v16
	v_fmac_f32_e32 v12, 0x3f737871, v60
	v_fmac_f32_e32 v26, 0xbf737871, v60
	v_add_f32_e32 v0, v2, v0
	v_fmac_f32_e32 v12, 0x3f167918, v58
	v_fmac_f32_e32 v26, 0xbf167918, v58
	;; [unrolled: 1-line block ×4, first 2 shown]
	v_add_f32_e32 v0, v51, v11
	v_add_f32_e32 v0, v0, v15
	v_sub_f32_e32 v2, v7, v11
	v_add_f32_e32 v7, v0, v19
	v_sub_f32_e32 v0, v19, v15
	v_add_f32_e32 v0, v2, v0
	v_mov_b32_e32 v2, v31
	v_fmac_f32_e32 v2, 0xbf737871, v63
	v_fmac_f32_e32 v31, 0x3f737871, v63
	;; [unrolled: 1-line block ×6, first 2 shown]
	v_add_f32_e32 v0, v54, v10
	v_add_f32_e32 v0, v0, v14
	v_sub_f32_e32 v6, v6, v10
	v_add_f32_e32 v9, v0, v18
	v_sub_f32_e32 v0, v18, v14
	v_add_f32_e32 v0, v6, v0
	v_mov_b32_e32 v6, v53
	v_fmac_f32_e32 v6, 0x3f737871, v66
	v_fmac_f32_e32 v53, 0xbf737871, v66
	;; [unrolled: 1-line block ×3, first 2 shown]
	v_sub_f32_e32 v25, v30, v50
	v_mov_b32_e32 v30, v56
	v_fmac_f32_e32 v62, 0x3f737871, v61
	v_fmac_f32_e32 v6, 0x3f167918, v64
	;; [unrolled: 1-line block ×15, first 2 shown]
	v_mul_f32_e32 v5, 0xbf737871, v5
	v_mul_f32_e32 v10, 0xbf167918, v6
	;; [unrolled: 1-line block ×7, first 2 shown]
	v_fmac_f32_e32 v30, 0x3e9e377a, v28
	v_fmac_f32_e32 v56, 0x3e9e377a, v28
	;; [unrolled: 1-line block ×10, first 2 shown]
	v_add_f32_e32 v0, v57, v5
	v_sub_f32_e32 v2, v57, v5
	v_add_f32_e32 v4, v13, v7
	v_add_f32_e32 v5, v8, v9
	v_sub_f32_e32 v6, v13, v7
	v_sub_f32_e32 v7, v8, v9
	v_add_f32_e32 v8, v30, v10
	v_add_f32_e32 v9, v12, v11
	v_sub_f32_e32 v10, v30, v10
	;; [unrolled: 4-line block ×4, first 2 shown]
	v_sub_f32_e32 v19, v26, v19
	ds_write2_b64 v197, v[22:23], v[24:25] offset0:32 offset1:132
	ds_write2_b64 v198, v[4:5], v[8:9] offset1:100
	ds_write2_b64 v201, v[12:13], v[0:1] offset0:72 offset1:172
	ds_write2_b64 v202, v[16:17], v[6:7] offset0:144 offset1:244
	;; [unrolled: 1-line block ×4, first 2 shown]
	s_waitcnt lgkmcnt(0)
	s_barrier
	ds_read2_b64 v[0:3], v185 offset1:200
	ds_read2_b64 v[4:7], v192 offset0:32 offset1:232
	ds_read2_b64 v[8:11], v189 offset0:16 offset1:216
	;; [unrolled: 1-line block ×4, first 2 shown]
	ds_read2_b64 v[20:23], v186 offset1:200
	s_waitcnt lgkmcnt(4)
	v_mul_f32_e32 v30, v33, v7
	v_fmac_f32_e32 v30, v32, v6
	v_mul_f32_e32 v6, v33, v6
	v_fma_f32 v31, v32, v7, -v6
	s_waitcnt lgkmcnt(3)
	v_mul_f32_e32 v32, v35, v9
	v_mul_f32_e32 v6, v35, v8
	ds_read2_b64 v[24:27], v188 offset0:32 offset1:232
	v_fmac_f32_e32 v32, v34, v8
	v_fma_f32 v33, v34, v9, -v6
	v_mul_f32_e32 v34, v39, v11
	v_fmac_f32_e32 v34, v38, v10
	v_mul_f32_e32 v10, v39, v10
	v_fma_f32 v35, v38, v11, -v10
	s_waitcnt lgkmcnt(2)
	v_mul_f32_e32 v38, v37, v17
	v_mul_f32_e32 v10, v37, v16
	v_fmac_f32_e32 v38, v36, v16
	v_fma_f32 v36, v36, v17, -v10
	v_mul_f32_e32 v37, v41, v19
	v_mul_f32_e32 v10, v41, v18
	v_fmac_f32_e32 v37, v40, v18
	v_fma_f32 v39, v40, v19, -v10
	s_waitcnt lgkmcnt(0)
	v_mul_f32_e32 v40, v43, v25
	v_mul_f32_e32 v10, v43, v24
	v_fmac_f32_e32 v40, v42, v24
	v_fma_f32 v24, v42, v25, -v10
	v_mul_f32_e32 v10, v172, v20
	ds_read2_b64 v[16:19], v190 offset1:200
	v_mul_f32_e32 v25, v172, v21
	v_fma_f32 v41, v171, v21, -v10
	v_mul_f32_e32 v42, v170, v23
	v_mul_f32_e32 v10, v170, v22
	v_fmac_f32_e32 v25, v171, v20
	v_fmac_f32_e32 v42, v169, v22
	v_fma_f32 v43, v169, v23, -v10
	ds_read2_b64 v[20:23], v194 offset0:16 offset1:216
	v_mul_f32_e32 v10, v182, v15
	ds_read2_b64 v[6:9], v193 offset0:16 offset1:216
	v_fmac_f32_e32 v10, v181, v14
	v_mul_f32_e32 v11, v182, v14
	v_mul_f32_e32 v48, v47, v27
	;; [unrolled: 1-line block ×3, first 2 shown]
	v_fmac_f32_e32 v48, v46, v26
	v_fma_f32 v46, v46, v27, -v14
	s_waitcnt lgkmcnt(2)
	v_mul_f32_e32 v47, v45, v17
	v_mul_f32_e32 v14, v45, v16
	v_fma_f32 v11, v181, v15, -v11
	v_fmac_f32_e32 v47, v44, v16
	v_fma_f32 v44, v44, v17, -v14
	s_waitcnt lgkmcnt(1)
	v_mul_f32_e32 v14, v180, v20
	v_mul_f32_e32 v52, v71, v13
	v_fma_f32 v49, v179, v21, -v14
	v_mul_f32_e32 v14, v69, v18
	v_fmac_f32_e32 v52, v70, v12
	v_mul_f32_e32 v12, v71, v12
	v_sub_f32_e32 v15, v1, v33
	v_sub_f32_e32 v17, v31, v11
	v_mul_f32_e32 v45, v180, v21
	v_mul_f32_e32 v50, v69, v19
	v_fma_f32 v51, v68, v19, -v14
	v_fma_f32 v53, v70, v13, -v12
	v_mul_f32_e32 v54, v178, v23
	v_mul_f32_e32 v12, v178, v22
	v_sub_f32_e32 v14, v0, v32
	v_fma_f32 v13, v1, 2.0, -v15
	v_sub_f32_e32 v16, v30, v10
	v_fma_f32 v1, v31, 2.0, -v17
	v_fmac_f32_e32 v45, v179, v20
	v_fmac_f32_e32 v50, v68, v18
	;; [unrolled: 1-line block ×3, first 2 shown]
	v_fma_f32 v55, v177, v23, -v12
	v_fma_f32 v12, v0, 2.0, -v14
	v_fma_f32 v0, v30, 2.0, -v16
	v_sub_f32_e32 v1, v13, v1
	v_sub_f32_e32 v20, v2, v34
	;; [unrolled: 1-line block ×3, first 2 shown]
	s_waitcnt lgkmcnt(0)
	v_sub_f32_e32 v27, v7, v24
	v_sub_f32_e32 v24, v39, v43
	;; [unrolled: 1-line block ×3, first 2 shown]
	v_fma_f32 v11, v13, 2.0, -v1
	v_sub_f32_e32 v13, v15, v16
	v_sub_f32_e32 v21, v3, v35
	v_fma_f32 v16, v2, 2.0, -v20
	v_sub_f32_e32 v18, v36, v41
	v_fma_f32 v2, v38, 2.0, -v19
	;; [unrolled: 2-line block ×4, first 2 shown]
	v_sub_f32_e32 v34, v8, v48
	v_sub_f32_e32 v35, v9, v46
	;; [unrolled: 1-line block ×8, first 2 shown]
	v_fma_f32 v10, v12, 2.0, -v0
	v_add_f32_e32 v12, v14, v17
	v_fma_f32 v17, v3, 2.0, -v21
	v_fma_f32 v3, v36, 2.0, -v18
	;; [unrolled: 1-line block ×12, first 2 shown]
	v_mad_u64_u32 v[28:29], s[6:7], s2, v140, 0
	v_fma_f32 v14, v14, 2.0, -v12
	v_fma_f32 v15, v15, 2.0, -v13
	v_sub_f32_e32 v2, v16, v2
	v_sub_f32_e32 v3, v17, v3
	v_add_f32_e32 v18, v20, v18
	v_sub_f32_e32 v19, v21, v19
	v_sub_f32_e32 v6, v22, v6
	v_sub_f32_e32 v7, v23, v7
	v_add_f32_e32 v24, v26, v24
	v_sub_f32_e32 v25, v27, v25
	;; [unrolled: 4-line block ×4, first 2 shown]
	v_fma_f32 v16, v16, 2.0, -v2
	v_fma_f32 v17, v17, 2.0, -v3
	;; [unrolled: 1-line block ×16, first 2 shown]
	ds_write_b64 v185, v[14:15] offset:8000
	ds_write_b64 v185, v[0:1] offset:16000
	;; [unrolled: 1-line block ×3, first 2 shown]
	ds_write2_b64 v185, v[10:11], v[16:17] offset1:200
	ds_write_b64 v185, v[2:3] offset:17600
	ds_write_b64 v185, v[18:19] offset:25600
	ds_write2_b64 v191, v[20:21], v[26:27] offset0:48 offset1:248
	ds_write2_b64 v193, v[22:23], v[30:31] offset0:16 offset1:216
	;; [unrolled: 1-line block ×4, first 2 shown]
	ds_write_b64 v185, v[36:37] offset:6400
	ds_write2_b64 v190, v[34:35], v[40:41] offset1:200
	ds_write_b64 v185, v[4:5] offset:22400
	ds_write_b64 v185, v[38:39] offset:30400
	s_waitcnt lgkmcnt(0)
	s_barrier
	ds_read2_b64 v[0:3], v185 offset1:200
	v_mov_b32_e32 v4, v29
	v_mad_u64_u32 v[4:5], s[2:3], s3, v140, v[4:5]
	s_mov_b32 s2, 0xd2f1a9fc
	s_waitcnt lgkmcnt(0)
	v_mul_f32_e32 v5, v152, v1
	v_fmac_f32_e32 v5, v151, v0
	v_cvt_f64_f32_e32 v[5:6], v5
	s_mov_b32 s3, 0x3f30624d
	v_mul_f32_e32 v0, v152, v0
	v_mad_u64_u32 v[8:9], s[6:7], s0, v183, 0
	v_mul_f64 v[5:6], v[5:6], s[2:3]
	v_fma_f32 v0, v151, v1, -v0
	v_cvt_f64_f32_e32 v[0:1], v0
	v_mov_b32_e32 v29, v4
	v_mov_b32_e32 v4, v9
	;; [unrolled: 1-line block ×3, first 2 shown]
	v_mul_f64 v[0:1], v[0:1], s[2:3]
	s_mul_hi_u32 s5, s0, 0xc80
	v_mad_u64_u32 v[9:10], s[6:7], s1, v183, v[4:5]
	v_cvt_f32_f64_e32 v10, v[5:6]
	ds_read2_b64 v[4:7], v193 offset0:16 offset1:216
	ds_read2_b64 v[32:35], v186 offset1:200
	ds_read2_b64 v[36:39], v194 offset0:16 offset1:216
	v_cvt_f32_f64_e32 v11, v[0:1]
	v_lshlrev_b64 v[0:1], 3, v[28:29]
	s_waitcnt lgkmcnt(2)
	v_mul_f32_e32 v12, v150, v5
	v_fmac_f32_e32 v12, v149, v4
	v_mul_f32_e32 v4, v150, v4
	v_fma_f32 v4, v149, v5, -v4
	v_cvt_f64_f32_e32 v[4:5], v4
	v_add_co_u32_e32 v15, vcc, s4, v0
	v_addc_co_u32_e32 v14, vcc, v14, v1, vcc
	v_lshlrev_b64 v[0:1], 3, v[8:9]
	v_mul_f64 v[4:5], v[4:5], s[2:3]
	v_add_co_u32_e32 v0, vcc, v15, v0
	v_addc_co_u32_e32 v1, vcc, v14, v1, vcc
	global_store_dwordx2 v[0:1], v[10:11], off
	ds_read2_b64 v[8:11], v192 offset0:32 offset1:232
	v_cvt_f64_f32_e32 v[12:13], v12
	v_cvt_f32_f64_e32 v17, v[4:5]
	s_mul_i32 s4, s1, 0xc80
	s_add_i32 s4, s5, s4
	s_waitcnt lgkmcnt(0)
	v_mul_f32_e32 v4, v148, v9
	v_mul_f64 v[12:13], v[12:13], s[2:3]
	v_fmac_f32_e32 v4, v147, v8
	v_cvt_f64_f32_e32 v[4:5], v4
	v_mul_f32_e32 v8, v148, v8
	v_fma_f32 v8, v147, v9, -v8
	v_cvt_f64_f32_e32 v[8:9], v8
	v_mul_f64 v[4:5], v[4:5], s[2:3]
	s_mul_i32 s5, s0, 0xc80
	v_cvt_f32_f64_e32 v16, v[12:13]
	ds_read2_b64 v[12:15], v191 offset0:48 offset1:248
	v_mul_f64 v[8:9], v[8:9], s[2:3]
	v_mov_b32_e32 v18, s4
	v_add_co_u32_e32 v0, vcc, s5, v0
	v_cvt_f32_f64_e32 v4, v[4:5]
	s_waitcnt lgkmcnt(0)
	v_mul_f32_e32 v5, v146, v13
	v_addc_co_u32_e32 v1, vcc, v1, v18, vcc
	v_fmac_f32_e32 v5, v145, v12
	global_store_dwordx2 v[0:1], v[16:17], off
	v_cvt_f64_f32_e32 v[16:17], v5
	v_mul_f32_e32 v5, v146, v12
	v_fma_f32 v5, v145, v13, -v5
	v_cvt_f64_f32_e32 v[12:13], v5
	v_cvt_f32_f64_e32 v5, v[8:9]
	v_mul_f64 v[8:9], v[16:17], s[2:3]
	ds_read2_b64 v[16:19], v190 offset1:200
	v_mul_f64 v[12:13], v[12:13], s[2:3]
	v_mov_b32_e32 v20, s4
	v_add_co_u32_e32 v0, vcc, s5, v0
	v_addc_co_u32_e32 v1, vcc, v1, v20, vcc
	global_store_dwordx2 v[0:1], v[4:5], off
	s_waitcnt lgkmcnt(0)
	v_mul_f32_e32 v4, v158, v17
	v_fmac_f32_e32 v4, v157, v16
	v_cvt_f64_f32_e32 v[4:5], v4
	v_cvt_f32_f64_e32 v8, v[8:9]
	v_cvt_f32_f64_e32 v9, v[12:13]
	v_mul_f32_e32 v12, v158, v16
	v_fma_f32 v12, v157, v17, -v12
	v_mul_f64 v[4:5], v[4:5], s[2:3]
	v_cvt_f64_f32_e32 v[12:13], v12
	v_mov_b32_e32 v24, s4
	v_add_co_u32_e32 v0, vcc, s5, v0
	ds_read2_b64 v[20:23], v189 offset0:16 offset1:216
	v_addc_co_u32_e32 v1, vcc, v1, v24, vcc
	global_store_dwordx2 v[0:1], v[8:9], off
	v_mul_f64 v[8:9], v[12:13], s[2:3]
	v_cvt_f32_f64_e32 v4, v[4:5]
	s_waitcnt lgkmcnt(0)
	v_mul_f32_e32 v5, v164, v21
	v_fmac_f32_e32 v5, v163, v20
	v_cvt_f64_f32_e32 v[12:13], v5
	v_mul_f32_e32 v5, v164, v20
	v_fma_f32 v5, v163, v21, -v5
	ds_read2_b64 v[24:27], v188 offset0:32 offset1:232
	v_cvt_f64_f32_e32 v[16:17], v5
	v_cvt_f32_f64_e32 v5, v[8:9]
	v_mov_b32_e32 v20, s4
	v_add_co_u32_e32 v0, vcc, s5, v0
	v_addc_co_u32_e32 v1, vcc, v1, v20, vcc
	v_mul_f64 v[8:9], v[12:13], s[2:3]
	v_mul_f64 v[12:13], v[16:17], s[2:3]
	global_store_dwordx2 v[0:1], v[4:5], off
	s_waitcnt lgkmcnt(0)
	v_mul_f32_e32 v4, v162, v25
	v_fmac_f32_e32 v4, v161, v24
	v_cvt_f64_f32_e32 v[4:5], v4
	ds_read2_b64 v[28:31], v187 offset0:48 offset1:248
	v_mov_b32_e32 v16, s4
	v_cvt_f32_f64_e32 v8, v[8:9]
	v_mul_f64 v[4:5], v[4:5], s[2:3]
	v_cvt_f32_f64_e32 v9, v[12:13]
	v_mul_f32_e32 v12, v162, v24
	v_fma_f32 v12, v161, v25, -v12
	v_cvt_f64_f32_e32 v[12:13], v12
	v_add_co_u32_e32 v0, vcc, s5, v0
	v_addc_co_u32_e32 v1, vcc, v1, v16, vcc
	global_store_dwordx2 v[0:1], v[8:9], off
	v_mul_f64 v[8:9], v[12:13], s[2:3]
	v_cvt_f32_f64_e32 v4, v[4:5]
	s_waitcnt lgkmcnt(0)
	v_mul_f32_e32 v5, v160, v29
	v_fmac_f32_e32 v5, v159, v28
	v_cvt_f64_f32_e32 v[12:13], v5
	v_mul_f32_e32 v5, v160, v28
	v_fma_f32 v5, v159, v29, -v5
	v_cvt_f64_f32_e32 v[16:17], v5
	v_cvt_f32_f64_e32 v5, v[8:9]
	v_mul_f64 v[8:9], v[12:13], s[2:3]
	v_add_co_u32_e32 v0, vcc, s5, v0
	v_mul_f64 v[12:13], v[16:17], s[2:3]
	v_addc_co_u32_e32 v1, vcc, v1, v20, vcc
	global_store_dwordx2 v[0:1], v[4:5], off
	v_mov_b32_e32 v16, s4
	v_cvt_f32_f64_e32 v4, v[8:9]
	v_mul_f32_e32 v8, v156, v33
	v_fmac_f32_e32 v8, v155, v32
	v_cvt_f32_f64_e32 v5, v[12:13]
	v_mul_f32_e32 v12, v156, v32
	v_fma_f32 v12, v155, v33, -v12
	v_cvt_f64_f32_e32 v[8:9], v8
	v_cvt_f64_f32_e32 v[12:13], v12
	v_add_co_u32_e32 v0, vcc, s5, v0
	v_addc_co_u32_e32 v1, vcc, v1, v16, vcc
	global_store_dwordx2 v[0:1], v[4:5], off
	v_mul_f64 v[4:5], v[8:9], s[2:3]
	v_mul_f64 v[8:9], v[12:13], s[2:3]
	v_mul_f32_e32 v12, v154, v37
	v_fmac_f32_e32 v12, v153, v36
	v_cvt_f64_f32_e32 v[12:13], v12
	v_mul_f32_e32 v16, v154, v36
	v_fma_f32 v16, v153, v37, -v16
	v_cvt_f64_f32_e32 v[16:17], v16
	v_cvt_f32_f64_e32 v4, v[4:5]
	v_cvt_f32_f64_e32 v5, v[8:9]
	v_mul_f64 v[8:9], v[12:13], s[2:3]
	v_mul_f64 v[12:13], v[16:17], s[2:3]
	v_mov_b32_e32 v16, s4
	v_add_co_u32_e32 v0, vcc, s5, v0
	v_addc_co_u32_e32 v1, vcc, v1, v16, vcc
	global_store_dwordx2 v[0:1], v[4:5], off
	v_cvt_f32_f64_e32 v4, v[8:9]
	v_mul_f32_e32 v8, v129, v3
	v_fmac_f32_e32 v8, v128, v2
	v_cvt_f64_f32_e32 v[8:9], v8
	v_mul_f32_e32 v2, v129, v2
	v_fma_f32 v2, v128, v3, -v2
	v_cvt_f32_f64_e32 v5, v[12:13]
	v_mov_b32_e32 v12, s4
	v_cvt_f64_f32_e32 v[2:3], v2
	v_add_co_u32_e32 v0, vcc, s5, v0
	v_addc_co_u32_e32 v1, vcc, v1, v12, vcc
	v_mul_f32_e32 v12, v131, v7
	v_mul_f64 v[8:9], v[8:9], s[2:3]
	v_fmac_f32_e32 v12, v130, v6
	v_mul_f32_e32 v6, v131, v6
	v_fma_f32 v6, v130, v7, -v6
	v_mul_f64 v[2:3], v[2:3], s[2:3]
	v_cvt_f64_f32_e32 v[6:7], v6
	v_cvt_f64_f32_e32 v[12:13], v12
	global_store_dwordx2 v[0:1], v[4:5], off
	v_cvt_f32_f64_e32 v4, v[8:9]
	v_mul_f64 v[6:7], v[6:7], s[2:3]
	v_mul_f64 v[8:9], v[12:13], s[2:3]
	v_mad_u64_u32 v[0:1], s[6:7], s0, v184, v[0:1]
	v_cvt_f32_f64_e32 v5, v[2:3]
	s_mulk_i32 s1, 0x95c0
	s_sub_i32 s0, s1, s0
	v_add_u32_e32 v1, s0, v1
	global_store_dwordx2 v[0:1], v[4:5], off
	v_cvt_f32_f64_e32 v3, v[6:7]
	v_mul_f32_e32 v4, v127, v11
	v_mul_f32_e32 v6, v127, v10
	v_fmac_f32_e32 v4, v126, v10
	v_fma_f32 v6, v126, v11, -v6
	v_cvt_f32_f64_e32 v2, v[8:9]
	v_cvt_f64_f32_e32 v[4:5], v4
	v_cvt_f64_f32_e32 v[6:7], v6
	v_mov_b32_e32 v8, s4
	v_add_co_u32_e32 v0, vcc, s5, v0
	v_addc_co_u32_e32 v1, vcc, v1, v8, vcc
	global_store_dwordx2 v[0:1], v[2:3], off
	v_mul_f64 v[2:3], v[4:5], s[2:3]
	v_mul_f64 v[4:5], v[6:7], s[2:3]
	v_mul_f32_e32 v6, v125, v15
	v_mul_f32_e32 v8, v125, v14
	v_fmac_f32_e32 v6, v124, v14
	v_fma_f32 v8, v124, v15, -v8
	v_cvt_f64_f32_e32 v[6:7], v6
	v_cvt_f64_f32_e32 v[8:9], v8
	v_cvt_f32_f64_e32 v2, v[2:3]
	v_cvt_f32_f64_e32 v3, v[4:5]
	v_mul_f64 v[4:5], v[6:7], s[2:3]
	v_mul_f64 v[6:7], v[8:9], s[2:3]
	v_mov_b32_e32 v8, s4
	v_add_co_u32_e32 v0, vcc, s5, v0
	v_addc_co_u32_e32 v1, vcc, v1, v8, vcc
	global_store_dwordx2 v[0:1], v[2:3], off
	v_cvt_f32_f64_e32 v2, v[4:5]
	v_cvt_f32_f64_e32 v3, v[6:7]
	v_mul_f32_e32 v4, v142, v19
	v_mul_f32_e32 v6, v142, v18
	v_fmac_f32_e32 v4, v141, v18
	v_fma_f32 v6, v141, v19, -v6
	v_cvt_f64_f32_e32 v[4:5], v4
	v_cvt_f64_f32_e32 v[6:7], v6
	v_add_co_u32_e32 v0, vcc, s5, v0
	v_addc_co_u32_e32 v1, vcc, v1, v8, vcc
	global_store_dwordx2 v[0:1], v[2:3], off
	v_mul_f64 v[2:3], v[4:5], s[2:3]
	v_mul_f64 v[4:5], v[6:7], s[2:3]
	v_mul_f32_e32 v6, v139, v23
	v_mul_f32_e32 v8, v139, v22
	v_fmac_f32_e32 v6, v138, v22
	v_fma_f32 v8, v138, v23, -v8
	v_cvt_f64_f32_e32 v[6:7], v6
	v_cvt_f64_f32_e32 v[8:9], v8
	v_cvt_f32_f64_e32 v2, v[2:3]
	v_cvt_f32_f64_e32 v3, v[4:5]
	v_mul_f64 v[4:5], v[6:7], s[2:3]
	v_mul_f64 v[6:7], v[8:9], s[2:3]
	v_mov_b32_e32 v8, s4
	v_add_co_u32_e32 v0, vcc, s5, v0
	v_addc_co_u32_e32 v1, vcc, v1, v8, vcc
	global_store_dwordx2 v[0:1], v[2:3], off
	v_cvt_f32_f64_e32 v2, v[4:5]
	v_cvt_f32_f64_e32 v3, v[6:7]
	v_mul_f32_e32 v4, v144, v27
	v_mul_f32_e32 v6, v144, v26
	v_fmac_f32_e32 v4, v143, v26
	v_fma_f32 v6, v143, v27, -v6
	v_cvt_f64_f32_e32 v[4:5], v4
	v_cvt_f64_f32_e32 v[6:7], v6
	;; [unrolled: 27-line block ×3, first 2 shown]
	v_add_co_u32_e32 v0, vcc, s5, v0
	v_addc_co_u32_e32 v1, vcc, v1, v8, vcc
	global_store_dwordx2 v[0:1], v[2:3], off
	v_mul_f64 v[2:3], v[4:5], s[2:3]
	v_mul_f64 v[4:5], v[6:7], s[2:3]
	v_mul_f32_e32 v6, v133, v39
	v_mul_f32_e32 v8, v133, v38
	v_fmac_f32_e32 v6, v132, v38
	v_fma_f32 v8, v132, v39, -v8
	v_cvt_f64_f32_e32 v[6:7], v6
	v_cvt_f64_f32_e32 v[8:9], v8
	v_cvt_f32_f64_e32 v2, v[2:3]
	v_cvt_f32_f64_e32 v3, v[4:5]
	v_mul_f64 v[4:5], v[6:7], s[2:3]
	v_mul_f64 v[6:7], v[8:9], s[2:3]
	v_mov_b32_e32 v8, s4
	v_add_co_u32_e32 v0, vcc, s5, v0
	v_addc_co_u32_e32 v1, vcc, v1, v8, vcc
	global_store_dwordx2 v[0:1], v[2:3], off
	v_cvt_f32_f64_e32 v2, v[4:5]
	v_cvt_f32_f64_e32 v3, v[6:7]
	v_mov_b32_e32 v4, s4
	v_add_co_u32_e32 v0, vcc, s5, v0
	v_addc_co_u32_e32 v1, vcc, v1, v4, vcc
	global_store_dwordx2 v[0:1], v[2:3], off
.LBB0_2:
	s_endpgm
	.section	.rodata,"a",@progbits
	.p2align	6, 0x0
	.amdhsa_kernel bluestein_single_back_len4000_dim1_sp_op_CI_CI
		.amdhsa_group_segment_fixed_size 32000
		.amdhsa_private_segment_fixed_size 0
		.amdhsa_kernarg_size 104
		.amdhsa_user_sgpr_count 6
		.amdhsa_user_sgpr_private_segment_buffer 1
		.amdhsa_user_sgpr_dispatch_ptr 0
		.amdhsa_user_sgpr_queue_ptr 0
		.amdhsa_user_sgpr_kernarg_segment_ptr 1
		.amdhsa_user_sgpr_dispatch_id 0
		.amdhsa_user_sgpr_flat_scratch_init 0
		.amdhsa_user_sgpr_private_segment_size 0
		.amdhsa_uses_dynamic_stack 0
		.amdhsa_system_sgpr_private_segment_wavefront_offset 0
		.amdhsa_system_sgpr_workgroup_id_x 1
		.amdhsa_system_sgpr_workgroup_id_y 0
		.amdhsa_system_sgpr_workgroup_id_z 0
		.amdhsa_system_sgpr_workgroup_info 0
		.amdhsa_system_vgpr_workitem_id 0
		.amdhsa_next_free_vgpr 238
		.amdhsa_next_free_sgpr 20
		.amdhsa_reserve_vcc 1
		.amdhsa_reserve_flat_scratch 0
		.amdhsa_float_round_mode_32 0
		.amdhsa_float_round_mode_16_64 0
		.amdhsa_float_denorm_mode_32 3
		.amdhsa_float_denorm_mode_16_64 3
		.amdhsa_dx10_clamp 1
		.amdhsa_ieee_mode 1
		.amdhsa_fp16_overflow 0
		.amdhsa_exception_fp_ieee_invalid_op 0
		.amdhsa_exception_fp_denorm_src 0
		.amdhsa_exception_fp_ieee_div_zero 0
		.amdhsa_exception_fp_ieee_overflow 0
		.amdhsa_exception_fp_ieee_underflow 0
		.amdhsa_exception_fp_ieee_inexact 0
		.amdhsa_exception_int_div_zero 0
	.end_amdhsa_kernel
	.text
.Lfunc_end0:
	.size	bluestein_single_back_len4000_dim1_sp_op_CI_CI, .Lfunc_end0-bluestein_single_back_len4000_dim1_sp_op_CI_CI
                                        ; -- End function
	.section	.AMDGPU.csdata,"",@progbits
; Kernel info:
; codeLenInByte = 20528
; NumSgprs: 24
; NumVgprs: 238
; ScratchSize: 0
; MemoryBound: 0
; FloatMode: 240
; IeeeMode: 1
; LDSByteSize: 32000 bytes/workgroup (compile time only)
; SGPRBlocks: 2
; VGPRBlocks: 59
; NumSGPRsForWavesPerEU: 24
; NumVGPRsForWavesPerEU: 238
; Occupancy: 1
; WaveLimiterHint : 1
; COMPUTE_PGM_RSRC2:SCRATCH_EN: 0
; COMPUTE_PGM_RSRC2:USER_SGPR: 6
; COMPUTE_PGM_RSRC2:TRAP_HANDLER: 0
; COMPUTE_PGM_RSRC2:TGID_X_EN: 1
; COMPUTE_PGM_RSRC2:TGID_Y_EN: 0
; COMPUTE_PGM_RSRC2:TGID_Z_EN: 0
; COMPUTE_PGM_RSRC2:TIDIG_COMP_CNT: 0
	.type	__hip_cuid_bfc40e4d08796f11,@object ; @__hip_cuid_bfc40e4d08796f11
	.section	.bss,"aw",@nobits
	.globl	__hip_cuid_bfc40e4d08796f11
__hip_cuid_bfc40e4d08796f11:
	.byte	0                               ; 0x0
	.size	__hip_cuid_bfc40e4d08796f11, 1

	.ident	"AMD clang version 19.0.0git (https://github.com/RadeonOpenCompute/llvm-project roc-6.4.0 25133 c7fe45cf4b819c5991fe208aaa96edf142730f1d)"
	.section	".note.GNU-stack","",@progbits
	.addrsig
	.addrsig_sym __hip_cuid_bfc40e4d08796f11
	.amdgpu_metadata
---
amdhsa.kernels:
  - .args:
      - .actual_access:  read_only
        .address_space:  global
        .offset:         0
        .size:           8
        .value_kind:     global_buffer
      - .actual_access:  read_only
        .address_space:  global
        .offset:         8
        .size:           8
        .value_kind:     global_buffer
      - .actual_access:  read_only
        .address_space:  global
        .offset:         16
        .size:           8
        .value_kind:     global_buffer
      - .actual_access:  read_only
        .address_space:  global
        .offset:         24
        .size:           8
        .value_kind:     global_buffer
      - .actual_access:  read_only
        .address_space:  global
        .offset:         32
        .size:           8
        .value_kind:     global_buffer
      - .offset:         40
        .size:           8
        .value_kind:     by_value
      - .address_space:  global
        .offset:         48
        .size:           8
        .value_kind:     global_buffer
      - .address_space:  global
        .offset:         56
        .size:           8
        .value_kind:     global_buffer
      - .address_space:  global
        .offset:         64
        .size:           8
        .value_kind:     global_buffer
      - .address_space:  global
        .offset:         72
        .size:           8
        .value_kind:     global_buffer
      - .offset:         80
        .size:           4
        .value_kind:     by_value
      - .address_space:  global
        .offset:         88
        .size:           8
        .value_kind:     global_buffer
      - .address_space:  global
        .offset:         96
        .size:           8
        .value_kind:     global_buffer
    .group_segment_fixed_size: 32000
    .kernarg_segment_align: 8
    .kernarg_segment_size: 104
    .language:       OpenCL C
    .language_version:
      - 2
      - 0
    .max_flat_workgroup_size: 200
    .name:           bluestein_single_back_len4000_dim1_sp_op_CI_CI
    .private_segment_fixed_size: 0
    .sgpr_count:     24
    .sgpr_spill_count: 0
    .symbol:         bluestein_single_back_len4000_dim1_sp_op_CI_CI.kd
    .uniform_work_group_size: 1
    .uses_dynamic_stack: false
    .vgpr_count:     238
    .vgpr_spill_count: 0
    .wavefront_size: 64
amdhsa.target:   amdgcn-amd-amdhsa--gfx906
amdhsa.version:
  - 1
  - 2
...

	.end_amdgpu_metadata
